;; amdgpu-corpus repo=ROCm/rocFFT kind=compiled arch=gfx906 opt=O3
	.text
	.amdgcn_target "amdgcn-amd-amdhsa--gfx906"
	.amdhsa_code_object_version 6
	.protected	bluestein_single_fwd_len1872_dim1_sp_op_CI_CI ; -- Begin function bluestein_single_fwd_len1872_dim1_sp_op_CI_CI
	.globl	bluestein_single_fwd_len1872_dim1_sp_op_CI_CI
	.p2align	8
	.type	bluestein_single_fwd_len1872_dim1_sp_op_CI_CI,@function
bluestein_single_fwd_len1872_dim1_sp_op_CI_CI: ; @bluestein_single_fwd_len1872_dim1_sp_op_CI_CI
; %bb.0:
	s_load_dwordx4 s[0:3], s[4:5], 0x28
	v_mul_u32_u24_e32 v1, 0x1a5, v0
	v_add_u32_sdwa v60, s6, v1 dst_sel:DWORD dst_unused:UNUSED_PAD src0_sel:DWORD src1_sel:WORD_1
	v_mov_b32_e32 v61, 0
	s_waitcnt lgkmcnt(0)
	v_cmp_gt_u64_e32 vcc, s[0:1], v[60:61]
	s_and_saveexec_b64 s[0:1], vcc
	s_cbranch_execz .LBB0_15
; %bb.1:
	s_load_dwordx2 s[10:11], s[4:5], 0x0
	s_load_dwordx2 s[8:9], s[4:5], 0x38
	s_movk_i32 s0, 0x9c
	v_mul_lo_u16_sdwa v1, v1, s0 dst_sel:DWORD dst_unused:UNUSED_PAD src0_sel:WORD_1 src1_sel:DWORD
	v_sub_u16_e32 v83, v0, v1
	s_movk_i32 s0, 0x90
	v_cmp_gt_u16_e64 s[0:1], s0, v83
	v_lshlrev_b32_e32 v84, 3, v83
	s_and_saveexec_b64 s[6:7], s[0:1]
	s_cbranch_execz .LBB0_3
; %bb.2:
	s_load_dwordx2 s[12:13], s[4:5], 0x18
	s_waitcnt lgkmcnt(0)
	s_load_dwordx4 s[12:15], s[12:13], 0x0
	s_waitcnt lgkmcnt(0)
	v_mad_u64_u32 v[0:1], s[16:17], s14, v60, 0
	v_mad_u64_u32 v[2:3], s[16:17], s12, v83, 0
	;; [unrolled: 1-line block ×4, first 2 shown]
	v_mov_b32_e32 v1, v4
	v_lshlrev_b64 v[0:1], 3, v[0:1]
	v_mov_b32_e32 v3, v5
	v_mov_b32_e32 v6, s3
	v_lshlrev_b64 v[2:3], 3, v[2:3]
	v_add_co_u32_e32 v0, vcc, s2, v0
	v_addc_co_u32_e32 v1, vcc, v6, v1, vcc
	v_add_co_u32_e32 v0, vcc, v0, v2
	v_addc_co_u32_e32 v1, vcc, v1, v3, vcc
	v_mov_b32_e32 v2, s11
	v_add_co_u32_e32 v48, vcc, s10, v84
	s_mul_i32 s2, s13, 0x480
	s_mul_hi_u32 s3, s12, 0x480
	v_addc_co_u32_e32 v49, vcc, 0, v2, vcc
	s_add_i32 s2, s3, s2
	s_mul_i32 s3, s12, 0x480
	v_mov_b32_e32 v3, s2
	v_add_co_u32_e32 v2, vcc, s3, v0
	v_addc_co_u32_e32 v3, vcc, v1, v3, vcc
	v_mov_b32_e32 v5, s2
	v_add_co_u32_e32 v4, vcc, s3, v2
	v_addc_co_u32_e32 v5, vcc, v3, v5, vcc
	v_mov_b32_e32 v7, s2
	v_add_co_u32_e32 v6, vcc, s3, v4
	v_addc_co_u32_e32 v7, vcc, v5, v7, vcc
	global_load_dwordx2 v[8:9], v[0:1], off
	global_load_dwordx2 v[10:11], v[2:3], off
	;; [unrolled: 1-line block ×4, first 2 shown]
	global_load_dwordx2 v[16:17], v84, s[10:11]
	global_load_dwordx2 v[18:19], v84, s[10:11] offset:1152
	global_load_dwordx2 v[20:21], v84, s[10:11] offset:2304
	;; [unrolled: 1-line block ×3, first 2 shown]
	v_mov_b32_e32 v1, s2
	v_add_co_u32_e32 v0, vcc, s3, v6
	v_addc_co_u32_e32 v1, vcc, v7, v1, vcc
	s_movk_i32 s12, 0x1000
	v_add_co_u32_e32 v4, vcc, s12, v48
	v_addc_co_u32_e32 v5, vcc, 0, v49, vcc
	global_load_dwordx2 v[2:3], v[0:1], off
	v_mov_b32_e32 v6, s2
	v_add_co_u32_e32 v0, vcc, s3, v0
	v_addc_co_u32_e32 v1, vcc, v1, v6, vcc
	global_load_dwordx2 v[6:7], v[0:1], off
	v_mov_b32_e32 v24, s2
	;; [unrolled: 4-line block ×3, first 2 shown]
	v_add_co_u32_e32 v0, vcc, s3, v0
	v_addc_co_u32_e32 v1, vcc, v1, v26, vcc
	global_load_dwordx2 v[26:27], v[0:1], off
	global_load_dwordx2 v[28:29], v[4:5], off offset:512
	global_load_dwordx2 v[30:31], v[4:5], off offset:1664
	;; [unrolled: 1-line block ×4, first 2 shown]
	v_mov_b32_e32 v4, s2
	v_add_co_u32_e32 v0, vcc, s3, v0
	v_addc_co_u32_e32 v1, vcc, v1, v4, vcc
	s_movk_i32 s12, 0x2000
	v_add_co_u32_e32 v36, vcc, s12, v48
	v_addc_co_u32_e32 v37, vcc, 0, v49, vcc
	global_load_dwordx2 v[4:5], v[0:1], off
	v_mov_b32_e32 v38, s2
	v_add_co_u32_e32 v0, vcc, s3, v0
	v_addc_co_u32_e32 v1, vcc, v1, v38, vcc
	global_load_dwordx2 v[38:39], v[0:1], off
	v_mov_b32_e32 v40, s2
	v_add_co_u32_e32 v0, vcc, s3, v0
	v_addc_co_u32_e32 v1, vcc, v1, v40, vcc
	global_load_dwordx2 v[40:41], v[0:1], off
	global_load_dwordx2 v[42:43], v[36:37], off offset:1024
	global_load_dwordx2 v[44:45], v[36:37], off offset:2176
	global_load_dwordx2 v[46:47], v[36:37], off offset:3328
	v_mov_b32_e32 v36, s2
	v_add_co_u32_e32 v0, vcc, s3, v0
	v_addc_co_u32_e32 v1, vcc, v1, v36, vcc
	s_movk_i32 s12, 0x3000
	v_add_co_u32_e32 v48, vcc, s12, v48
	v_addc_co_u32_e32 v49, vcc, 0, v49, vcc
	global_load_dwordx2 v[36:37], v[0:1], off
	global_load_dwordx2 v[50:51], v[48:49], off offset:384
	v_mov_b32_e32 v52, s2
	v_add_co_u32_e32 v0, vcc, s3, v0
	v_addc_co_u32_e32 v1, vcc, v1, v52, vcc
	global_load_dwordx2 v[52:53], v[0:1], off
	global_load_dwordx2 v[54:55], v[48:49], off offset:1536
	s_waitcnt vmcnt(21)
	v_mul_f32_e32 v0, v9, v17
	v_mul_f32_e32 v1, v8, v17
	v_fmac_f32_e32 v0, v8, v16
	v_fma_f32 v1, v9, v16, -v1
	s_waitcnt vmcnt(20)
	v_mul_f32_e32 v8, v11, v19
	v_mul_f32_e32 v9, v10, v19
	v_fmac_f32_e32 v8, v10, v18
	v_fma_f32 v9, v11, v18, -v9
	ds_write2_b64 v84, v[0:1], v[8:9] offset1:144
	s_waitcnt vmcnt(19)
	v_mul_f32_e32 v0, v13, v21
	v_mul_f32_e32 v1, v12, v21
	s_waitcnt vmcnt(18)
	v_mul_f32_e32 v8, v15, v23
	v_mul_f32_e32 v9, v14, v23
	v_fmac_f32_e32 v0, v12, v20
	v_fma_f32 v1, v13, v20, -v1
	v_fmac_f32_e32 v8, v14, v22
	v_fma_f32 v9, v15, v22, -v9
	v_add_u32_e32 v10, 0x800, v84
	ds_write2_b64 v10, v[0:1], v[8:9] offset0:32 offset1:176
	s_waitcnt vmcnt(13)
	v_mul_f32_e32 v0, v3, v29
	v_mul_f32_e32 v1, v2, v29
	v_fmac_f32_e32 v0, v2, v28
	v_fma_f32 v1, v3, v28, -v1
	s_waitcnt vmcnt(12)
	v_mul_f32_e32 v2, v7, v31
	v_mul_f32_e32 v3, v6, v31
	v_fmac_f32_e32 v2, v6, v30
	v_fma_f32 v3, v7, v30, -v3
	v_add_u32_e32 v6, 0x1000, v84
	ds_write2_b64 v6, v[0:1], v[2:3] offset0:64 offset1:208
	s_waitcnt vmcnt(11)
	v_mul_f32_e32 v0, v25, v33
	v_mul_f32_e32 v1, v24, v33
	s_waitcnt vmcnt(10)
	v_mul_f32_e32 v2, v27, v35
	v_mul_f32_e32 v3, v26, v35
	v_fmac_f32_e32 v0, v24, v32
	v_fma_f32 v1, v25, v32, -v1
	v_fmac_f32_e32 v2, v26, v34
	v_fma_f32 v3, v27, v34, -v3
	v_add_u32_e32 v6, 0x1800, v84
	ds_write2_b64 v6, v[0:1], v[2:3] offset0:96 offset1:240
	s_waitcnt vmcnt(6)
	v_mul_f32_e32 v0, v5, v43
	v_mul_f32_e32 v1, v4, v43
	s_waitcnt vmcnt(5)
	v_mul_f32_e32 v2, v39, v45
	v_mul_f32_e32 v3, v38, v45
	v_fmac_f32_e32 v0, v4, v42
	v_fma_f32 v1, v5, v42, -v1
	v_fmac_f32_e32 v2, v38, v44
	v_fma_f32 v3, v39, v44, -v3
	v_add_u32_e32 v4, 0x2400, v84
	ds_write2_b64 v4, v[0:1], v[2:3] offset1:144
	s_waitcnt vmcnt(4)
	v_mul_f32_e32 v0, v41, v47
	v_mul_f32_e32 v1, v40, v47
	v_fmac_f32_e32 v0, v40, v46
	v_fma_f32 v1, v41, v46, -v1
	s_waitcnt vmcnt(2)
	v_mul_f32_e32 v2, v37, v51
	v_mul_f32_e32 v3, v36, v51
	v_fmac_f32_e32 v2, v36, v50
	v_fma_f32 v3, v37, v50, -v3
	v_add_u32_e32 v4, 0x2c00, v84
	ds_write2_b64 v4, v[0:1], v[2:3] offset0:32 offset1:176
	s_waitcnt vmcnt(0)
	v_mul_f32_e32 v0, v53, v55
	v_mul_f32_e32 v1, v52, v55
	v_fmac_f32_e32 v0, v52, v54
	v_fma_f32 v1, v53, v54, -v1
	ds_write_b64 v84, v[0:1] offset:13824
.LBB0_3:
	s_or_b64 exec, exec, s[6:7]
	s_load_dwordx2 s[6:7], s[4:5], 0x20
	s_load_dwordx2 s[2:3], s[4:5], 0x8
	v_mov_b32_e32 v0, 0
	v_mov_b32_e32 v1, 0
	s_waitcnt lgkmcnt(0)
	s_barrier
	s_waitcnt lgkmcnt(0)
                                        ; implicit-def: $vgpr6
                                        ; implicit-def: $vgpr14
                                        ; implicit-def: $vgpr24
                                        ; implicit-def: $vgpr10
                                        ; implicit-def: $vgpr18
                                        ; implicit-def: $vgpr22
	s_and_saveexec_b64 s[4:5], s[0:1]
	s_cbranch_execz .LBB0_5
; %bb.4:
	v_add_u32_e32 v4, 0x800, v84
	ds_read2_b64 v[20:23], v4 offset0:32 offset1:176
	v_add_u32_e32 v4, 0x1000, v84
	ds_read2_b64 v[16:19], v4 offset0:64 offset1:208
	v_add_u32_e32 v4, 0x1800, v84
	v_add_u32_e32 v8, 0x2400, v84
	;; [unrolled: 1-line block ×3, first 2 shown]
	ds_read2_b64 v[0:3], v84 offset1:144
	ds_read2_b64 v[4:7], v4 offset0:96 offset1:240
	ds_read2_b64 v[8:11], v8 offset1:144
	ds_read2_b64 v[12:15], v12 offset0:32 offset1:176
	ds_read_b64 v[24:25], v84 offset:13824
.LBB0_5:
	s_or_b64 exec, exec, s[4:5]
	s_waitcnt lgkmcnt(0)
	v_sub_f32_e32 v48, v3, v25
	v_mul_f32_e32 v40, 0xbeedf032, v48
	v_sub_f32_e32 v51, v21, v15
	v_add_f32_e32 v28, v24, v2
	v_sub_f32_e32 v54, v2, v24
	v_mov_b32_e32 v26, v40
	v_mul_f32_e32 v41, 0xbf52af12, v51
	v_add_f32_e32 v30, v25, v3
	s_mov_b32 s12, 0x3f62ad3f
	v_mul_f32_e32 v42, 0xbeedf032, v54
	v_fmac_f32_e32 v26, 0x3f62ad3f, v28
	v_add_f32_e32 v29, v14, v20
	v_sub_f32_e32 v56, v20, v14
	v_mov_b32_e32 v31, v41
	v_add_f32_e32 v26, v26, v0
	v_fma_f32 v27, v30, s12, -v42
	v_add_f32_e32 v32, v15, v21
	s_mov_b32 s13, 0x3f116cb1
	v_mul_f32_e32 v45, 0xbf52af12, v56
	v_fmac_f32_e32 v31, 0x3f116cb1, v29
	v_sub_f32_e32 v53, v23, v13
	v_add_f32_e32 v27, v27, v1
	v_add_f32_e32 v26, v31, v26
	v_fma_f32 v31, v32, s13, -v45
	v_mul_f32_e32 v43, 0xbf7e222b, v53
	v_add_f32_e32 v27, v31, v27
	v_add_f32_e32 v31, v12, v22
	v_sub_f32_e32 v58, v22, v12
	v_mov_b32_e32 v33, v43
	v_add_f32_e32 v34, v13, v23
	s_mov_b32 s14, 0x3df6dbef
	v_mul_f32_e32 v46, 0xbf7e222b, v58
	v_fmac_f32_e32 v33, 0x3df6dbef, v31
	v_sub_f32_e32 v57, v17, v11
	v_add_f32_e32 v26, v33, v26
	v_fma_f32 v33, v34, s14, -v46
	v_mul_f32_e32 v44, 0xbf6f5d39, v57
	v_add_f32_e32 v27, v33, v27
	v_add_f32_e32 v33, v10, v16
	v_sub_f32_e32 v64, v16, v10
	v_mov_b32_e32 v35, v44
	v_add_f32_e32 v36, v11, v17
	s_mov_b32 s15, 0xbeb58ec6
	v_mul_f32_e32 v50, 0xbf6f5d39, v64
	v_fmac_f32_e32 v35, 0xbeb58ec6, v33
	v_sub_f32_e32 v59, v19, v9
	;; [unrolled: 12-line block ×3, first 2 shown]
	v_add_f32_e32 v26, v37, v26
	v_fma_f32 v37, v38, s16, -v52
	v_mul_f32_e32 v49, 0xbe750f2a, v63
	v_add_f32_e32 v27, v37, v27
	v_add_f32_e32 v37, v6, v4
	v_sub_f32_e32 v65, v4, v6
	v_mov_b32_e32 v61, v49
	v_add_f32_e32 v39, v7, v5
	s_mov_b32 s17, 0xbf788fa5
	v_mul_f32_e32 v55, 0xbe750f2a, v65
	v_fmac_f32_e32 v61, 0xbf788fa5, v37
	v_add_f32_e32 v61, v61, v26
	v_fma_f32 v26, v39, s17, -v55
	v_add_f32_e32 v62, v26, v27
	v_mul_lo_u16_e32 v85, 13, v83
	s_barrier
	s_and_saveexec_b64 s[4:5], s[0:1]
	s_cbranch_execz .LBB0_7
; %bb.6:
	v_mul_f32_e32 v67, 0x3df6dbef, v30
	v_mov_b32_e32 v26, v67
	v_mul_f32_e32 v69, 0xbf788fa5, v32
	v_fmac_f32_e32 v26, 0x3f7e222b, v54
	v_mov_b32_e32 v27, v69
	v_add_f32_e32 v26, v26, v1
	v_fmac_f32_e32 v27, 0x3e750f2a, v56
	v_mul_f32_e32 v70, 0xbeb58ec6, v34
	v_add_f32_e32 v26, v27, v26
	v_mov_b32_e32 v27, v70
	v_fmac_f32_e32 v27, 0xbf6f5d39, v58
	v_mul_f32_e32 v71, 0x3f62ad3f, v36
	v_add_f32_e32 v26, v27, v26
	v_mov_b32_e32 v27, v71
	;; [unrolled: 4-line block ×5, first 2 shown]
	v_mul_f32_e32 v74, 0xbe750f2a, v51
	v_fmac_f32_e32 v26, 0x3df6dbef, v28
	v_mov_b32_e32 v75, v74
	v_add_f32_e32 v26, v26, v0
	v_fmac_f32_e32 v75, 0xbf788fa5, v29
	v_add_f32_e32 v26, v75, v26
	v_mul_f32_e32 v75, 0x3f6f5d39, v53
	v_mov_b32_e32 v76, v75
	v_fmac_f32_e32 v76, 0xbeb58ec6, v31
	v_add_f32_e32 v26, v76, v26
	v_mul_f32_e32 v76, 0x3eedf032, v57
	v_mov_b32_e32 v77, v76
	v_fmac_f32_e32 v77, 0x3f62ad3f, v33
	v_add_f32_e32 v26, v77, v26
	v_add_f32_e32 v2, v2, v0
	v_mul_f32_e32 v77, 0xbf52af12, v59
	v_add_f32_e32 v3, v3, v1
	v_add_f32_e32 v2, v20, v2
	v_mov_b32_e32 v20, v77
	v_mul_f32_e32 v78, 0xbf29c268, v63
	v_add_f32_e32 v3, v21, v3
	v_fmac_f32_e32 v20, 0x3f116cb1, v35
	v_mov_b32_e32 v21, v78
	v_add_f32_e32 v2, v22, v2
	v_add_f32_e32 v20, v20, v26
	v_fmac_f32_e32 v21, 0xbf3f9e67, v37
	v_mul_f32_e32 v22, 0xbeb58ec6, v30
	v_add_f32_e32 v3, v23, v3
	v_add_f32_e32 v26, v21, v20
	v_mov_b32_e32 v20, v22
	v_mul_f32_e32 v23, 0xbf3f9e67, v32
	v_fmac_f32_e32 v20, 0x3f6f5d39, v54
	v_mov_b32_e32 v21, v23
	v_add_f32_e32 v2, v16, v2
	v_mul_f32_e32 v81, 0x3f62ad3f, v34
	v_add_f32_e32 v20, v20, v1
	v_fmac_f32_e32 v21, 0xbf29c268, v56
	v_add_f32_e32 v3, v17, v3
	v_add_f32_e32 v80, v18, v2
	v_mov_b32_e32 v2, v81
	v_mul_f32_e32 v82, 0x3df6dbef, v36
	v_add_f32_e32 v20, v21, v20
	v_add_f32_e32 v79, v19, v3
	v_fmac_f32_e32 v2, 0xbeedf032, v58
	v_mov_b32_e32 v3, v82
	v_add_f32_e32 v2, v2, v20
	v_fmac_f32_e32 v3, 0x3f7e222b, v64
	v_mul_f32_e32 v86, 0xbf788fa5, v38
	v_add_f32_e32 v2, v3, v2
	v_mov_b32_e32 v3, v86
	v_fmac_f32_e32 v3, 0xbe750f2a, v66
	v_mul_f32_e32 v87, 0xbf6f5d39, v48
	v_add_f32_e32 v2, v3, v2
	v_mov_b32_e32 v3, v87
	v_mul_f32_e32 v88, 0x3f29c268, v51
	v_fmac_f32_e32 v3, 0xbeb58ec6, v28
	v_mov_b32_e32 v16, v88
	v_add_f32_e32 v3, v3, v0
	v_fmac_f32_e32 v16, 0xbf3f9e67, v29
	v_mul_f32_e32 v89, 0x3eedf032, v53
	v_add_f32_e32 v3, v16, v3
	v_mov_b32_e32 v16, v89
	v_fmac_f32_e32 v16, 0x3f62ad3f, v31
	v_mul_f32_e32 v90, 0xbf7e222b, v57
	v_add_f32_e32 v3, v16, v3
	v_mov_b32_e32 v16, v90
	;; [unrolled: 4-line block ×6, first 2 shown]
	v_mul_f32_e32 v21, 0x3df6dbef, v32
	v_fmac_f32_e32 v16, 0x3f29c268, v54
	v_mov_b32_e32 v17, v21
	v_add_f32_e32 v16, v16, v1
	v_fmac_f32_e32 v17, 0xbf7e222b, v56
	v_mul_f32_e32 v94, 0x3f116cb1, v34
	v_add_f32_e32 v16, v17, v16
	v_mov_b32_e32 v17, v94
	v_fmac_f32_e32 v17, 0x3f52af12, v58
	v_mul_f32_e32 v95, 0xbf788fa5, v36
	v_add_f32_e32 v16, v17, v16
	v_mov_b32_e32 v17, v95
	;; [unrolled: 4-line block ×4, first 2 shown]
	v_mul_f32_e32 v98, 0x3f7e222b, v51
	v_fmac_f32_e32 v17, 0xbf3f9e67, v28
	v_mov_b32_e32 v18, v98
	v_add_f32_e32 v17, v17, v0
	v_fmac_f32_e32 v18, 0x3df6dbef, v29
	v_mul_f32_e32 v99, 0xbf52af12, v53
	v_add_f32_e32 v17, v18, v17
	v_mov_b32_e32 v18, v99
	v_fmac_f32_e32 v18, 0x3f116cb1, v31
	v_mul_f32_e32 v100, 0x3e750f2a, v57
	v_add_f32_e32 v17, v18, v17
	v_mov_b32_e32 v18, v100
	v_fmac_f32_e32 v18, 0xbf788fa5, v33
	v_mul_f32_e32 v101, 0x3eedf032, v59
	v_fmac_f32_e32 v67, 0xbf7e222b, v54
	v_add_f32_e32 v17, v18, v17
	v_mov_b32_e32 v18, v101
	v_add_f32_e32 v67, v67, v1
	v_fmac_f32_e32 v69, 0xbe750f2a, v56
	v_fmac_f32_e32 v18, 0x3f62ad3f, v35
	v_mul_f32_e32 v102, 0xbeb58ec6, v39
	v_add_f32_e32 v67, v69, v67
	v_fmac_f32_e32 v70, 0x3f6f5d39, v58
	v_fma_f32 v69, v28, s14, -v73
	v_add_f32_e32 v18, v18, v17
	v_mov_b32_e32 v17, v102
	v_add_f32_e32 v67, v70, v67
	v_add_f32_e32 v69, v69, v0
	v_fma_f32 v70, v29, s17, -v74
	v_fmac_f32_e32 v17, 0x3f6f5d39, v65
	v_mul_f32_e32 v103, 0xbf6f5d39, v63
	v_fmac_f32_e32 v71, 0x3eedf032, v64
	v_add_f32_e32 v69, v70, v69
	v_fma_f32 v70, v31, s15, -v75
	v_add_f32_e32 v17, v17, v16
	v_mov_b32_e32 v16, v103
	v_add_f32_e32 v67, v71, v67
	v_fmac_f32_e32 v72, 0xbf52af12, v66
	v_add_f32_e32 v69, v70, v69
	v_fma_f32 v70, v33, s12, -v76
	v_fmac_f32_e32 v16, 0xbeb58ec6, v37
	v_mul_f32_e32 v104, 0xbe750f2a, v54
	v_add_f32_e32 v67, v72, v67
	v_add_f32_e32 v69, v70, v69
	v_fma_f32 v70, v35, s13, -v77
	v_fmac_f32_e32 v68, 0xbf29c268, v65
	v_add_f32_e32 v16, v16, v18
	v_mov_b32_e32 v18, v104
	v_mul_f32_e32 v105, 0x3eedf032, v56
	v_add_f32_e32 v69, v70, v69
	v_add_f32_e32 v68, v68, v67
	v_fma_f32 v67, v37, s16, -v78
	v_fmac_f32_e32 v18, 0xbf788fa5, v30
	v_mov_b32_e32 v19, v105
	v_add_f32_e32 v67, v67, v69
	v_mul_f32_e32 v69, 0xbf52af12, v54
	v_add_f32_e32 v18, v18, v1
	v_fmac_f32_e32 v19, 0x3f62ad3f, v32
	v_mul_f32_e32 v106, 0xbf29c268, v58
	v_fmac_f32_e32 v20, 0xbf29c268, v54
	v_fmac_f32_e32 v21, 0x3f7e222b, v56
	;; [unrolled: 1-line block ×4, first 2 shown]
	v_mov_b32_e32 v54, v69
	v_mul_f32_e32 v56, 0xbf6f5d39, v56
	v_add_f32_e32 v18, v19, v18
	v_mov_b32_e32 v19, v106
	v_fmac_f32_e32 v54, 0x3f116cb1, v30
	v_mov_b32_e32 v70, v56
	v_fmac_f32_e32 v19, 0xbf3f9e67, v34
	v_mul_f32_e32 v107, 0x3f52af12, v64
	v_fmac_f32_e32 v94, 0xbf52af12, v58
	v_fmac_f32_e32 v81, 0x3eedf032, v58
	v_add_f32_e32 v54, v54, v1
	v_fmac_f32_e32 v70, 0xbeb58ec6, v32
	v_mul_f32_e32 v58, 0xbe750f2a, v58
	v_add_f32_e32 v18, v19, v18
	v_mov_b32_e32 v19, v107
	v_add_f32_e32 v54, v70, v54
	v_mov_b32_e32 v70, v58
	v_fmac_f32_e32 v19, 0x3f116cb1, v36
	v_mul_f32_e32 v108, 0xbf6f5d39, v66
	v_fmac_f32_e32 v95, 0x3e750f2a, v64
	v_fmac_f32_e32 v82, 0xbf7e222b, v64
	;; [unrolled: 1-line block ×3, first 2 shown]
	v_mul_f32_e32 v64, 0x3f29c268, v64
	v_add_f32_e32 v18, v19, v18
	v_mov_b32_e32 v19, v108
	v_add_f32_e32 v54, v70, v54
	v_mov_b32_e32 v70, v64
	v_fmac_f32_e32 v19, 0xbeb58ec6, v38
	v_mul_f32_e32 v109, 0xbe750f2a, v48
	v_fmac_f32_e32 v96, 0x3eedf032, v66
	v_fmac_f32_e32 v86, 0x3e750f2a, v66
	;; [unrolled: 1-line block ×3, first 2 shown]
	v_mul_f32_e32 v66, 0x3f7e222b, v66
	v_add_f32_e32 v18, v19, v18
	v_fma_f32 v19, v28, s17, -v109
	v_mul_f32_e32 v110, 0x3eedf032, v51
	v_add_f32_e32 v54, v70, v54
	v_mov_b32_e32 v70, v66
	v_add_f32_e32 v19, v19, v0
	v_fma_f32 v111, v29, s12, -v110
	v_fmac_f32_e32 v70, 0x3df6dbef, v38
	v_mul_f32_e32 v48, 0xbf52af12, v48
	v_add_f32_e32 v19, v111, v19
	v_mul_f32_e32 v111, 0xbf29c268, v53
	v_add_f32_e32 v54, v70, v54
	v_fma_f32 v70, v28, s13, -v48
	v_mul_f32_e32 v51, 0xbf6f5d39, v51
	v_fma_f32 v112, v31, s16, -v111
	v_add_f32_e32 v70, v70, v0
	v_fma_f32 v71, v29, s15, -v51
	v_add_f32_e32 v19, v112, v19
	v_mul_f32_e32 v112, 0x3f52af12, v57
	v_add_f32_e32 v70, v71, v70
	v_mul_f32_e32 v71, 0xbe750f2a, v53
	v_fma_f32 v113, v33, s13, -v112
	v_fma_f32 v53, v31, s17, -v71
	v_mul_f32_e32 v57, 0x3f29c268, v57
	v_add_f32_e32 v19, v113, v19
	v_mul_f32_e32 v113, 0xbf6f5d39, v59
	v_add_f32_e32 v53, v53, v70
	v_fma_f32 v70, v33, s16, -v57
	v_mul_f32_e32 v59, 0x3f7e222b, v59
	v_mul_f32_e32 v115, 0x3f7e222b, v65
	v_fmac_f32_e32 v102, 0xbf6f5d39, v65
	v_fmac_f32_e32 v92, 0x3f52af12, v65
	v_add_f32_e32 v53, v70, v53
	v_fma_f32 v70, v35, s14, -v59
	v_mul_f32_e32 v65, 0x3eedf032, v65
	v_add_f32_e32 v53, v70, v53
	v_mov_b32_e32 v70, v65
	v_mul_f32_e32 v116, 0x3f7e222b, v63
	v_fmac_f32_e32 v70, 0x3f62ad3f, v39
	v_mul_f32_e32 v63, 0x3eedf032, v63
	v_add_f32_e32 v54, v70, v54
	v_fma_f32 v70, v37, s12, -v63
	v_add_f32_e32 v53, v70, v53
	v_mul_f32_e32 v70, 0x3f62ad3f, v30
	v_add_f32_e32 v42, v42, v70
	v_mul_f32_e32 v70, 0x3f116cb1, v32
	v_add_f32_e32 v45, v45, v70
	v_add_f32_e32 v42, v42, v1
	;; [unrolled: 1-line block ×3, first 2 shown]
	v_mul_f32_e32 v45, 0x3df6dbef, v34
	v_add_f32_e32 v4, v4, v80
	v_add_f32_e32 v45, v46, v45
	v_mul_f32_e32 v46, 0x3f62ad3f, v28
	v_add_f32_e32 v5, v5, v79
	v_add_f32_e32 v4, v6, v4
	v_fma_f32 v6, v30, s17, -v104
	v_sub_f32_e32 v40, v46, v40
	v_mul_f32_e32 v46, 0x3f116cb1, v29
	v_add_f32_e32 v5, v7, v5
	v_add_f32_e32 v6, v6, v1
	v_fma_f32 v7, v32, s12, -v105
	v_sub_f32_e32 v41, v46, v41
	v_add_f32_e32 v40, v40, v0
	v_add_f32_e32 v6, v7, v6
	v_fma_f32 v7, v34, s16, -v106
	v_add_f32_e32 v42, v45, v42
	v_mul_f32_e32 v45, 0xbeb58ec6, v36
	v_add_f32_e32 v40, v41, v40
	v_mul_f32_e32 v41, 0x3df6dbef, v31
	v_add_f32_e32 v6, v7, v6
	v_fma_f32 v7, v36, s13, -v107
	v_add_f32_e32 v20, v20, v1
	v_add_f32_e32 v22, v22, v1
	;; [unrolled: 1-line block ×3, first 2 shown]
	v_sub_f32_e32 v41, v41, v43
	v_add_f32_e32 v4, v8, v4
	v_add_f32_e32 v6, v7, v6
	v_fma_f32 v7, v38, s15, -v108
	v_fma_f32 v8, v30, s13, -v69
	v_add_f32_e32 v20, v21, v20
	v_fma_f32 v21, v28, s16, -v97
	v_add_f32_e32 v22, v23, v22
	;; [unrolled: 2-line block ×3, first 2 shown]
	v_mul_f32_e32 v45, 0xbf3f9e67, v38
	v_add_f32_e32 v40, v41, v40
	v_mul_f32_e32 v41, 0xbeb58ec6, v33
	v_add_f32_e32 v6, v7, v6
	v_fma_f32 v7, v39, s14, -v115
	v_fmac_f32_e32 v109, 0xbf788fa5, v28
	v_add_f32_e32 v1, v8, v1
	v_fma_f32 v8, v32, s15, -v56
	v_fmac_f32_e32 v48, 0x3f116cb1, v28
	v_add_f32_e32 v20, v94, v20
	v_add_f32_e32 v21, v21, v0
	v_fma_f32 v94, v29, s14, -v98
	v_add_f32_e32 v22, v81, v22
	v_add_f32_e32 v23, v23, v0
	v_fma_f32 v81, v29, s16, -v88
	v_add_f32_e32 v45, v52, v45
	v_sub_f32_e32 v41, v41, v44
	v_add_f32_e32 v5, v9, v5
	v_add_f32_e32 v7, v7, v6
	v_add_f32_e32 v6, v109, v0
	v_fmac_f32_e32 v110, 0x3f62ad3f, v29
	v_add_f32_e32 v1, v8, v1
	v_fma_f32 v8, v34, s17, -v58
	v_add_f32_e32 v0, v48, v0
	v_fmac_f32_e32 v51, 0xbeb58ec6, v29
	v_fma_f32 v114, v35, s15, -v113
	v_add_f32_e32 v21, v94, v21
	v_fma_f32 v94, v31, s13, -v99
	v_add_f32_e32 v23, v81, v23
	;; [unrolled: 2-line block ×3, first 2 shown]
	v_mul_f32_e32 v45, 0xbf788fa5, v39
	v_add_f32_e32 v40, v41, v40
	v_mul_f32_e32 v41, 0xbf3f9e67, v35
	v_add_f32_e32 v5, v11, v5
	v_add_f32_e32 v4, v10, v4
	;; [unrolled: 1-line block ×3, first 2 shown]
	v_fmac_f32_e32 v111, 0xbf3f9e67, v31
	v_add_f32_e32 v1, v8, v1
	v_fma_f32 v8, v36, s16, -v64
	v_add_f32_e32 v0, v51, v0
	v_fmac_f32_e32 v71, 0xbf788fa5, v31
	v_add_f32_e32 v114, v114, v19
	v_mov_b32_e32 v19, v115
	v_add_f32_e32 v20, v95, v20
	v_add_f32_e32 v21, v94, v21
	v_fma_f32 v94, v33, s17, -v100
	v_add_f32_e32 v22, v82, v22
	v_add_f32_e32 v23, v81, v23
	v_fma_f32 v81, v33, s14, -v90
	v_add_f32_e32 v45, v55, v45
	v_sub_f32_e32 v41, v41, v47
	v_mul_f32_e32 v43, 0xbf788fa5, v37
	v_add_f32_e32 v5, v13, v5
	v_add_f32_e32 v4, v12, v4
	v_add_f32_e32 v6, v111, v6
	v_fmac_f32_e32 v112, 0x3f116cb1, v33
	v_add_f32_e32 v1, v8, v1
	v_fma_f32 v8, v38, s14, -v66
	v_add_f32_e32 v0, v71, v0
	v_fmac_f32_e32 v57, 0xbf3f9e67, v33
	v_fmac_f32_e32 v19, 0x3df6dbef, v39
	v_add_f32_e32 v20, v96, v20
	v_add_f32_e32 v21, v94, v21
	v_fma_f32 v94, v35, s12, -v101
	v_add_f32_e32 v22, v86, v22
	v_add_f32_e32 v23, v81, v23
	v_fma_f32 v81, v35, s17, -v91
	v_add_f32_e32 v40, v41, v40
	v_add_f32_e32 v41, v45, v42
	v_sub_f32_e32 v42, v43, v49
	v_add_f32_e32 v5, v15, v5
	v_add_f32_e32 v4, v14, v4
	;; [unrolled: 1-line block ×3, first 2 shown]
	v_fmac_f32_e32 v113, 0xbeb58ec6, v35
	v_add_f32_e32 v1, v8, v1
	v_fma_f32 v8, v39, s12, -v65
	v_add_f32_e32 v0, v57, v0
	v_fmac_f32_e32 v59, 0x3df6dbef, v35
	v_add_f32_e32 v19, v19, v18
	v_fma_f32 v18, v37, s14, -v116
	v_add_f32_e32 v94, v94, v21
	v_add_f32_e32 v21, v102, v20
	v_fma_f32 v20, v37, s15, -v103
	v_add_f32_e32 v81, v81, v23
	v_add_f32_e32 v23, v92, v22
	v_fma_f32 v22, v37, s13, -v93
	v_add_f32_e32 v40, v42, v40
	v_add_f32_e32 v5, v25, v5
	v_add_f32_e32 v4, v24, v4
	;; [unrolled: 1-line block ×3, first 2 shown]
	v_fmac_f32_e32 v116, 0x3df6dbef, v37
	v_add_f32_e32 v1, v8, v1
	v_add_f32_e32 v0, v59, v0
	v_fmac_f32_e32 v63, 0x3f62ad3f, v37
	v_lshlrev_b32_e32 v8, 3, v85
	v_add_f32_e32 v18, v18, v114
	v_add_f32_e32 v20, v20, v94
	;; [unrolled: 1-line block ×5, first 2 shown]
	ds_write2_b64 v8, v[4:5], v[40:41] offset1:1
	ds_write2_b64 v8, v[53:54], v[67:68] offset0:2 offset1:3
	ds_write2_b64 v8, v[22:23], v[20:21] offset0:4 offset1:5
	;; [unrolled: 1-line block ×5, first 2 shown]
	ds_write_b64 v8, v[61:62] offset:96
.LBB0_7:
	s_or_b64 exec, exec, s[4:5]
	s_movk_i32 s12, 0x138
	v_add_co_u32_e32 v41, vcc, s12, v83
	s_movk_i32 s12, 0x1d4
	s_movk_i32 s13, 0x4f
	v_mul_lo_u16_sdwa v0, v83, s13 dst_sel:DWORD dst_unused:UNUSED_PAD src0_sel:BYTE_0 src1_sel:DWORD
	s_movk_i32 s13, 0x4ec5
	v_add_co_u32_e32 v8, vcc, s12, v83
	v_mul_u32_u24_sdwa v9, v41, s13 dst_sel:DWORD dst_unused:UNUSED_PAD src0_sel:WORD_0 src1_sel:DWORD
	v_mul_u32_u24_sdwa v10, v8, s13 dst_sel:DWORD dst_unused:UNUSED_PAD src0_sel:WORD_0 src1_sel:DWORD
	v_add_co_u32_e32 v40, vcc, 0x9c, v83
	v_lshrrev_b16_e32 v42, 10, v0
	v_lshrrev_b32_e32 v46, 18, v9
	v_lshrrev_b32_e32 v48, 18, v10
	v_mul_lo_u16_e32 v0, 13, v42
	v_mul_u32_u24_sdwa v1, v40, s13 dst_sel:DWORD dst_unused:UNUSED_PAD src0_sel:WORD_0 src1_sel:DWORD
	v_mul_lo_u16_e32 v9, 13, v46
	v_mul_lo_u16_e32 v10, 13, v48
	v_sub_u16_e32 v0, v83, v0
	v_lshrrev_b32_e32 v44, 18, v1
	v_sub_u16_e32 v47, v41, v9
	v_sub_u16_e32 v49, v8, v10
	v_and_b32_e32 v43, 0xff, v0
	v_mul_lo_u16_e32 v1, 13, v44
	v_lshlrev_b16_e32 v9, 1, v47
	v_lshlrev_b16_e32 v8, 1, v49
	v_lshlrev_b32_e32 v0, 4, v43
	v_sub_u16_e32 v45, v40, v1
	v_lshlrev_b32_e32 v9, 3, v9
	v_lshlrev_b32_e32 v8, 3, v8
	s_load_dwordx4 s[4:7], s[6:7], 0x0
	s_waitcnt lgkmcnt(0)
	s_barrier
	global_load_dwordx4 v[4:7], v0, s[2:3]
	global_load_dwordx4 v[12:15], v9, s[2:3]
	v_mov_b32_e32 v16, 3
	global_load_dwordx4 v[8:11], v8, s[2:3]
	v_lshlrev_b16_e32 v0, 1, v45
	v_lshlrev_b32_e32 v0, 3, v0
	global_load_dwordx4 v[0:3], v0, s[2:3]
	v_lshlrev_b32_sdwa v86, v16, v83 dst_sel:DWORD dst_unused:UNUSED_PAD src0_sel:DWORD src1_sel:WORD_0
	v_add_u32_e32 v87, 0x1200, v86
	ds_read2_b64 v[16:19], v86 offset1:156
	v_add_u32_e32 v96, 0x2400, v86
	v_add_u32_e32 v97, 0x800, v86
	;; [unrolled: 1-line block ×4, first 2 shown]
	ds_read2_b64 v[20:23], v87 offset0:48 offset1:204
	ds_read2_b64 v[24:27], v96 offset0:96 offset1:252
	;; [unrolled: 1-line block ×5, first 2 shown]
	v_mul_u32_u24_e32 v42, 39, v42
	v_add_lshl_u32 v88, v42, v43, 3
	s_waitcnt vmcnt(0) lgkmcnt(0)
	s_barrier
	s_movk_i32 s12, 0xa5
	v_mul_f32_e32 v50, v21, v5
	v_mul_f32_e32 v51, v20, v5
	;; [unrolled: 1-line block ×4, first 2 shown]
	v_fma_f32 v50, v20, v4, -v50
	v_fmac_f32_e32 v51, v21, v4
	v_fma_f32 v24, v24, v6, -v52
	v_mul_f32_e32 v21, v37, v15
	v_mul_f32_e32 v54, v23, v1
	;; [unrolled: 1-line block ×5, first 2 shown]
	v_fma_f32 v36, v36, v14, -v21
	v_add_f32_e32 v21, v50, v24
	v_fmac_f32_e32 v53, v25, v6
	v_fma_f32 v52, v22, v0, -v54
	v_fmac_f32_e32 v55, v23, v0
	v_mul_f32_e32 v22, v35, v9
	v_mul_f32_e32 v23, v39, v11
	v_fma_f32 v64, v32, v12, -v20
	v_add_f32_e32 v20, v16, v50
	v_fma_f32 v16, -0.5, v21, v16
	v_fma_f32 v65, v34, v8, -v22
	v_fma_f32 v66, v38, v10, -v23
	v_sub_f32_e32 v21, v51, v53
	v_mov_b32_e32 v22, v16
	v_add_f32_e32 v23, v51, v53
	v_fmac_f32_e32 v22, 0x3f5db3d7, v21
	v_fmac_f32_e32 v16, 0xbf5db3d7, v21
	v_add_f32_e32 v21, v17, v51
	v_fma_f32 v17, -0.5, v23, v17
	v_add_f32_e32 v20, v20, v24
	v_sub_f32_e32 v24, v50, v24
	v_mov_b32_e32 v23, v17
	v_add_f32_e32 v21, v21, v53
	v_fmac_f32_e32 v23, 0xbf5db3d7, v24
	v_fmac_f32_e32 v17, 0x3f5db3d7, v24
	ds_write2_b64 v88, v[20:21], v[22:23] offset1:13
	ds_write_b64 v88, v[16:17] offset:208
	v_mad_legacy_u16 v16, v44, 39, v45
	v_mul_f32_e32 v56, v27, v3
	v_lshlrev_b32_e32 v89, 3, v16
	v_mad_legacy_u16 v16, v46, 39, v47
	v_fma_f32 v54, v26, v2, -v56
	v_lshlrev_b32_e32 v90, 3, v16
	v_mad_legacy_u16 v16, v48, 39, v49
	v_mul_f32_e32 v57, v26, v3
	v_add_f32_e32 v25, v52, v54
	v_lshlrev_b32_e32 v91, 3, v16
	v_mul_lo_u16_sdwa v16, v83, s12 dst_sel:DWORD dst_unused:UNUSED_PAD src0_sel:BYTE_0 src1_sel:DWORD
	v_fmac_f32_e32 v57, v27, v2
	v_add_f32_e32 v24, v18, v52
	v_fma_f32 v18, -0.5, v25, v18
	v_sub_u16_sdwa v17, v83, v16 dst_sel:DWORD dst_unused:UNUSED_PAD src0_sel:DWORD src1_sel:BYTE_1
	v_sub_f32_e32 v25, v55, v57
	v_mov_b32_e32 v26, v18
	v_add_f32_e32 v27, v55, v57
	v_lshrrev_b16_e32 v17, 1, v17
	v_mul_f32_e32 v56, v32, v13
	v_fmac_f32_e32 v26, 0x3f5db3d7, v25
	v_fmac_f32_e32 v18, 0xbf5db3d7, v25
	v_add_f32_e32 v25, v19, v55
	v_fmac_f32_e32 v19, -0.5, v27
	v_and_b32_e32 v17, 0x7f, v17
	v_fmac_f32_e32 v56, v33, v12
	v_sub_f32_e32 v32, v52, v54
	v_mov_b32_e32 v27, v19
	v_add_f32_e32 v33, v64, v36
	v_add_u16_sdwa v16, v17, v16 dst_sel:DWORD dst_unused:UNUSED_PAD src0_sel:DWORD src1_sel:BYTE_1
	v_mul_f32_e32 v59, v34, v9
	v_fmac_f32_e32 v58, v37, v14
	v_fmac_f32_e32 v27, 0xbf5db3d7, v32
	;; [unrolled: 1-line block ×3, first 2 shown]
	v_add_f32_e32 v32, v28, v64
	v_fma_f32 v28, -0.5, v33, v28
	v_lshrrev_b16_e32 v16, 5, v16
	v_fmac_f32_e32 v59, v35, v8
	v_sub_f32_e32 v33, v56, v58
	v_mov_b32_e32 v34, v28
	v_add_f32_e32 v35, v56, v58
	v_and_b32_e32 v52, 7, v16
	v_fmac_f32_e32 v34, 0x3f5db3d7, v33
	v_fmac_f32_e32 v28, 0xbf5db3d7, v33
	v_add_f32_e32 v33, v29, v56
	v_fma_f32 v29, -0.5, v35, v29
	v_mul_lo_u16_e32 v16, 39, v52
	v_mul_f32_e32 v63, v38, v11
	v_add_f32_e32 v32, v32, v36
	v_sub_f32_e32 v36, v64, v36
	v_mov_b32_e32 v35, v29
	v_add_f32_e32 v37, v65, v66
	v_sub_u16_e32 v16, v83, v16
	v_fmac_f32_e32 v63, v39, v10
	v_fmac_f32_e32 v35, 0xbf5db3d7, v36
	;; [unrolled: 1-line block ×3, first 2 shown]
	v_add_f32_e32 v36, v30, v65
	v_fma_f32 v30, -0.5, v37, v30
	v_and_b32_e32 v53, 0xff, v16
	v_sub_f32_e32 v37, v59, v63
	v_mov_b32_e32 v38, v30
	v_add_f32_e32 v39, v59, v63
	v_mad_u64_u32 v[20:21], s[12:13], v53, 24, s[2:3]
	v_fmac_f32_e32 v38, 0x3f5db3d7, v37
	v_fmac_f32_e32 v30, 0xbf5db3d7, v37
	v_add_f32_e32 v37, v31, v59
	v_fmac_f32_e32 v31, -0.5, v39
	v_sub_f32_e32 v50, v65, v66
	v_mov_b32_e32 v39, v31
	v_add_f32_e32 v24, v24, v54
	v_add_f32_e32 v25, v25, v57
	;; [unrolled: 1-line block ×5, first 2 shown]
	v_fmac_f32_e32 v39, 0xbf5db3d7, v50
	s_mov_b32 s12, 0xa41b
	v_fmac_f32_e32 v31, 0x3f5db3d7, v50
	ds_write2_b64 v89, v[24:25], v[26:27] offset1:13
	ds_write_b64 v89, v[18:19] offset:208
	ds_write2_b64 v90, v[32:33], v[34:35] offset1:13
	ds_write_b64 v90, v[28:29] offset:208
	;; [unrolled: 2-line block ×3, first 2 shown]
	s_waitcnt lgkmcnt(0)
	s_barrier
	global_load_dwordx2 v[63:64], v[20:21], off offset:224
	global_load_dwordx4 v[16:19], v[20:21], off offset:208
	v_mul_u32_u24_sdwa v20, v40, s12 dst_sel:DWORD dst_unused:UNUSED_PAD src0_sel:WORD_0 src1_sel:DWORD
	v_sub_u16_sdwa v21, v40, v20 dst_sel:DWORD dst_unused:UNUSED_PAD src0_sel:DWORD src1_sel:WORD_1
	v_lshrrev_b16_e32 v21, 1, v21
	v_add_u16_sdwa v20, v21, v20 dst_sel:DWORD dst_unused:UNUSED_PAD src0_sel:DWORD src1_sel:WORD_1
	v_lshrrev_b16_e32 v54, 5, v20
	v_mul_lo_u16_e32 v20, 39, v54
	v_sub_u16_e32 v55, v40, v20
	v_mul_lo_u16_e32 v20, 24, v55
	v_mov_b32_e32 v26, s3
	v_add_co_u32_e32 v24, vcc, s2, v20
	v_addc_co_u32_e32 v25, vcc, 0, v26, vcc
	global_load_dwordx2 v[65:66], v[24:25], off offset:224
	global_load_dwordx4 v[20:23], v[24:25], off offset:208
	v_mul_u32_u24_sdwa v24, v41, s12 dst_sel:DWORD dst_unused:UNUSED_PAD src0_sel:WORD_0 src1_sel:DWORD
	v_sub_u16_sdwa v25, v41, v24 dst_sel:DWORD dst_unused:UNUSED_PAD src0_sel:DWORD src1_sel:WORD_1
	v_lshrrev_b16_e32 v25, 1, v25
	v_add_u16_sdwa v24, v25, v24 dst_sel:DWORD dst_unused:UNUSED_PAD src0_sel:DWORD src1_sel:WORD_1
	v_lshrrev_b16_e32 v56, 5, v24
	v_mul_lo_u16_e32 v24, 39, v56
	v_sub_u16_e32 v57, v41, v24
	v_mul_lo_u16_e32 v24, 24, v57
	v_add_co_u32_e32 v28, vcc, s2, v24
	v_addc_co_u32_e32 v29, vcc, 0, v26, vcc
	global_load_dwordx4 v[24:27], v[28:29], off offset:208
	global_load_dwordx2 v[67:68], v[28:29], off offset:224
	ds_read2_b64 v[28:31], v86 offset1:156
	ds_read2_b64 v[32:35], v97 offset0:56 offset1:212
	ds_read2_b64 v[36:39], v98 offset0:40 offset1:196
	;; [unrolled: 1-line block ×5, first 2 shown]
	s_movk_i32 s12, 0x9c
	v_mul_u32_u24_sdwa v52, v52, s12 dst_sel:DWORD dst_unused:UNUSED_PAD src0_sel:WORD_0 src1_sel:DWORD
	v_add_lshl_u32 v92, v52, v53, 3
	s_waitcnt vmcnt(0) lgkmcnt(0)
	s_barrier
	v_mul_f32_e32 v58, v35, v17
	v_fma_f32 v58, v34, v16, -v58
	v_mul_f32_e32 v34, v34, v17
	v_fmac_f32_e32 v34, v35, v16
	v_mul_f32_e32 v35, v37, v19
	v_fma_f32 v35, v36, v18, -v35
	v_mul_f32_e32 v36, v36, v19
	v_fmac_f32_e32 v36, v37, v18
	;; [unrolled: 4-line block ×3, first 2 shown]
	v_sub_f32_e32 v37, v58, v37
	v_mul_f32_e32 v43, v45, v21
	v_fma_f32 v43, v44, v20, -v43
	v_mul_f32_e32 v44, v44, v21
	v_fmac_f32_e32 v44, v45, v20
	v_mul_f32_e32 v45, v39, v23
	v_fma_f32 v45, v38, v22, -v45
	v_mul_f32_e32 v59, v38, v23
	v_mul_f32_e32 v38, v49, v66
	v_fma_f32 v69, v48, v65, -v38
	v_mul_f32_e32 v48, v48, v66
	v_fmac_f32_e32 v48, v49, v65
	v_fmac_f32_e32 v59, v39, v22
	v_mul_f32_e32 v38, v47, v25
	v_fma_f32 v49, v46, v24, -v38
	v_mul_f32_e32 v46, v46, v25
	v_mul_f32_e32 v38, v41, v27
	v_fmac_f32_e32 v46, v47, v24
	v_fma_f32 v47, v40, v26, -v38
	v_mul_f32_e32 v38, v51, v68
	v_mul_f32_e32 v70, v40, v27
	v_fma_f32 v71, v50, v67, -v38
	v_sub_f32_e32 v38, v28, v35
	v_sub_f32_e32 v39, v29, v36
	;; [unrolled: 1-line block ×3, first 2 shown]
	v_mul_f32_e32 v50, v50, v68
	v_fma_f32 v35, v28, 2.0, -v38
	v_fma_f32 v36, v29, 2.0, -v39
	;; [unrolled: 1-line block ×4, first 2 shown]
	v_fmac_f32_e32 v50, v51, v67
	v_sub_f32_e32 v28, v35, v28
	v_sub_f32_e32 v29, v36, v29
	;; [unrolled: 1-line block ×6, first 2 shown]
	v_fmac_f32_e32 v70, v41, v26
	v_fma_f32 v34, v35, 2.0, -v28
	v_fma_f32 v35, v36, 2.0, -v29
	v_sub_f32_e32 v36, v38, v40
	v_fma_f32 v40, v30, 2.0, -v45
	v_fma_f32 v41, v31, 2.0, -v51
	;; [unrolled: 1-line block ×4, first 2 shown]
	v_sub_f32_e32 v42, v45, v42
	v_add_f32_e32 v43, v51, v58
	v_add_f32_e32 v37, v39, v37
	v_fma_f32 v44, v45, 2.0, -v42
	v_fma_f32 v45, v51, 2.0, -v43
	v_sub_f32_e32 v51, v32, v47
	v_sub_f32_e32 v58, v33, v70
	;; [unrolled: 1-line block ×4, first 2 shown]
	v_fma_f32 v38, v38, 2.0, -v36
	v_fma_f32 v39, v39, 2.0, -v37
	;; [unrolled: 1-line block ×6, first 2 shown]
	v_mad_u64_u32 v[71:72], s[2:3], v83, 40, s[2:3]
	v_sub_f32_e32 v32, v47, v32
	v_sub_f32_e32 v33, v48, v33
	ds_write2_b64 v92, v[34:35], v[38:39] offset1:39
	ds_write2_b64 v92, v[28:29], v[36:37] offset0:78 offset1:117
	v_mad_legacy_u16 v28, v54, s12, v55
	v_sub_f32_e32 v30, v40, v30
	v_sub_f32_e32 v31, v41, v31
	v_fma_f32 v46, v47, 2.0, -v32
	v_fma_f32 v47, v48, 2.0, -v33
	v_sub_f32_e32 v48, v51, v50
	v_add_f32_e32 v49, v58, v59
	v_lshlrev_b32_e32 v93, 3, v28
	v_mad_legacy_u16 v28, v56, s12, v57
	v_fma_f32 v40, v40, 2.0, -v30
	v_fma_f32 v41, v41, 2.0, -v31
	v_fma_f32 v50, v51, 2.0, -v48
	v_fma_f32 v51, v58, 2.0, -v49
	v_lshlrev_b32_e32 v94, 3, v28
	ds_write2_b64 v93, v[40:41], v[44:45] offset1:39
	ds_write2_b64 v93, v[30:31], v[42:43] offset0:78 offset1:117
	ds_write2_b64 v94, v[46:47], v[50:51] offset1:39
	ds_write2_b64 v94, v[32:33], v[48:49] offset0:78 offset1:117
	s_waitcnt lgkmcnt(0)
	s_barrier
	global_load_dwordx4 v[32:35], v[71:72], off offset:1144
	global_load_dwordx4 v[28:31], v[71:72], off offset:1160
	global_load_dwordx2 v[69:70], v[71:72], off offset:1176
	ds_read2_b64 v[36:39], v86 offset1:156
	ds_read2_b64 v[40:43], v97 offset0:56 offset1:212
	ds_read2_b64 v[44:47], v87 offset0:48 offset1:204
	;; [unrolled: 1-line block ×5, first 2 shown]
	s_waitcnt vmcnt(0) lgkmcnt(0)
	s_barrier
	s_movk_i32 s2, 0x1000
	s_movk_i32 s12, 0x3000
	v_mul_f32_e32 v73, v41, v33
	v_fma_f32 v73, v40, v32, -v73
	v_mul_f32_e32 v74, v40, v33
	v_mul_f32_e32 v40, v45, v35
	v_fmac_f32_e32 v74, v41, v32
	v_fma_f32 v40, v44, v34, -v40
	v_mul_f32_e32 v41, v44, v35
	v_mul_f32_e32 v44, v49, v29
	v_fmac_f32_e32 v41, v45, v34
	;; [unrolled: 4-line block ×5, first 2 shown]
	v_fma_f32 v56, v42, v32, -v56
	v_mul_f32_e32 v57, v42, v33
	v_mul_f32_e32 v42, v47, v35
	v_fma_f32 v75, v46, v34, -v42
	v_mul_f32_e32 v42, v51, v29
	v_fma_f32 v77, v50, v28, -v42
	v_mul_f32_e32 v50, v50, v29
	v_mul_f32_e32 v42, v55, v31
	v_fmac_f32_e32 v50, v51, v28
	v_fma_f32 v51, v54, v30, -v42
	v_mul_f32_e32 v54, v54, v31
	v_mul_f32_e32 v42, v59, v70
	v_fmac_f32_e32 v54, v55, v30
	v_fma_f32 v55, v58, v69, -v42
	v_add_f32_e32 v42, v36, v40
	v_mul_f32_e32 v76, v46, v35
	v_add_f32_e32 v46, v42, v48
	v_add_f32_e32 v42, v40, v48
	v_fmac_f32_e32 v76, v47, v34
	v_mul_f32_e32 v58, v58, v70
	v_fma_f32 v47, -0.5, v42, v36
	v_fmac_f32_e32 v58, v59, v69
	v_sub_f32_e32 v36, v41, v49
	v_mov_b32_e32 v59, v47
	v_fmac_f32_e32 v59, 0x3f5db3d7, v36
	v_fmac_f32_e32 v47, 0xbf5db3d7, v36
	v_add_f32_e32 v36, v37, v41
	v_add_f32_e32 v78, v36, v49
	;; [unrolled: 1-line block ×3, first 2 shown]
	v_fma_f32 v49, -0.5, v36, v37
	v_sub_f32_e32 v36, v40, v48
	v_mov_b32_e32 v79, v49
	v_fmac_f32_e32 v79, 0xbf5db3d7, v36
	v_fmac_f32_e32 v49, 0x3f5db3d7, v36
	v_add_f32_e32 v36, v73, v44
	v_add_f32_e32 v48, v36, v52
	;; [unrolled: 1-line block ×3, first 2 shown]
	v_fmac_f32_e32 v73, -0.5, v36
	v_sub_f32_e32 v36, v45, v53
	v_mov_b32_e32 v41, v73
	v_fmac_f32_e32 v41, 0x3f5db3d7, v36
	v_fmac_f32_e32 v73, 0xbf5db3d7, v36
	v_add_f32_e32 v36, v74, v45
	v_add_f32_e32 v80, v36, v53
	;; [unrolled: 1-line block ×3, first 2 shown]
	v_fmac_f32_e32 v74, -0.5, v36
	v_fmac_f32_e32 v57, v43, v32
	v_sub_f32_e32 v36, v44, v52
	v_mov_b32_e32 v43, v74
	v_fmac_f32_e32 v43, 0xbf5db3d7, v36
	v_fmac_f32_e32 v74, 0x3f5db3d7, v36
	v_mul_f32_e32 v52, -0.5, v73
	v_mul_f32_e32 v45, 0x3f5db3d7, v43
	v_fmac_f32_e32 v52, 0x3f5db3d7, v74
	v_add_f32_e32 v36, v46, v48
	v_fmac_f32_e32 v45, 0.5, v41
	v_add_f32_e32 v42, v47, v52
	v_sub_f32_e32 v44, v46, v48
	v_sub_f32_e32 v48, v47, v52
	v_add_f32_e32 v52, v38, v75
	v_add_f32_e32 v40, v59, v45
	v_sub_f32_e32 v46, v59, v45
	v_add_f32_e32 v59, v52, v51
	v_add_f32_e32 v52, v75, v51
	v_mul_f32_e32 v74, -0.5, v74
	v_fma_f32 v38, -0.5, v52, v38
	v_fmac_f32_e32 v74, 0xbf5db3d7, v73
	v_sub_f32_e32 v52, v76, v54
	v_mov_b32_e32 v73, v38
	v_mul_f32_e32 v53, 0xbf5db3d7, v41
	v_fmac_f32_e32 v73, 0x3f5db3d7, v52
	v_fmac_f32_e32 v38, 0xbf5db3d7, v52
	v_add_f32_e32 v52, v39, v76
	v_fmac_f32_e32 v53, 0.5, v43
	v_add_f32_e32 v43, v49, v74
	v_sub_f32_e32 v49, v49, v74
	v_add_f32_e32 v74, v52, v54
	v_add_f32_e32 v52, v76, v54
	v_fmac_f32_e32 v39, -0.5, v52
	v_sub_f32_e32 v51, v75, v51
	v_mov_b32_e32 v75, v39
	v_fmac_f32_e32 v75, 0xbf5db3d7, v51
	v_fmac_f32_e32 v39, 0x3f5db3d7, v51
	v_add_f32_e32 v51, v56, v77
	v_add_f32_e32 v76, v51, v55
	;; [unrolled: 1-line block ×3, first 2 shown]
	v_fmac_f32_e32 v56, -0.5, v51
	v_add_f32_e32 v41, v79, v53
	v_sub_f32_e32 v47, v79, v53
	v_sub_f32_e32 v51, v50, v58
	v_mov_b32_e32 v53, v56
	v_fmac_f32_e32 v53, 0x3f5db3d7, v51
	v_fmac_f32_e32 v56, 0xbf5db3d7, v51
	v_add_f32_e32 v51, v57, v50
	v_add_f32_e32 v50, v50, v58
	v_fmac_f32_e32 v57, -0.5, v50
	v_sub_f32_e32 v50, v77, v55
	v_mov_b32_e32 v55, v57
	v_fmac_f32_e32 v55, 0xbf5db3d7, v50
	v_fmac_f32_e32 v57, 0x3f5db3d7, v50
	v_add_f32_e32 v37, v78, v80
	v_sub_f32_e32 v45, v78, v80
	v_add_f32_e32 v78, v51, v58
	v_mul_f32_e32 v58, 0x3f5db3d7, v55
	v_mul_f32_e32 v77, -0.5, v56
	v_mul_f32_e32 v79, 0xbf5db3d7, v53
	v_mul_f32_e32 v80, -0.5, v57
	v_fmac_f32_e32 v58, 0.5, v53
	v_fmac_f32_e32 v77, 0x3f5db3d7, v57
	v_fmac_f32_e32 v79, 0.5, v55
	v_fmac_f32_e32 v80, 0xbf5db3d7, v56
	v_add_f32_e32 v50, v59, v76
	v_add_f32_e32 v52, v73, v58
	;; [unrolled: 1-line block ×6, first 2 shown]
	v_sub_f32_e32 v56, v59, v76
	v_sub_f32_e32 v58, v73, v58
	;; [unrolled: 1-line block ×6, first 2 shown]
	ds_write2_b64 v86, v[36:37], v[40:41] offset1:156
	ds_write2_b64 v97, v[42:43], v[44:45] offset0:56 offset1:212
	ds_write2_b64 v87, v[46:47], v[48:49] offset0:48 offset1:204
	;; [unrolled: 1-line block ×5, first 2 shown]
	v_lshlrev_b32_e32 v36, 5, v83
	v_sub_co_u32_e32 v38, vcc, v71, v36
	v_subbrev_co_u32_e32 v39, vcc, 0, v72, vcc
	v_add_co_u32_e32 v36, vcc, s2, v38
	v_addc_co_u32_e32 v37, vcc, 0, v39, vcc
	s_waitcnt lgkmcnt(0)
	s_barrier
	global_load_dwordx2 v[71:72], v[36:37], off offset:3288
	s_movk_i32 s2, 0x2000
	v_add_co_u32_e32 v36, vcc, s2, v38
	v_addc_co_u32_e32 v37, vcc, 0, v39, vcc
	global_load_dwordx2 v[73:74], v[36:37], off offset:440
	global_load_dwordx2 v[75:76], v[36:37], off offset:1688
	;; [unrolled: 1-line block ×3, first 2 shown]
	v_add_co_u32_e32 v36, vcc, s12, v38
	v_addc_co_u32_e32 v37, vcc, 0, v39, vcc
	global_load_dwordx2 v[79:80], v[36:37], off offset:88
	global_load_dwordx2 v[81:82], v[36:37], off offset:1336
	ds_read2_b64 v[42:45], v86 offset1:156
	ds_read2_b64 v[36:39], v98 offset0:40 offset1:196
	ds_read2_b64 v[50:53], v97 offset0:56 offset1:212
	ds_read2_b64 v[46:49], v96 offset0:96 offset1:252
	ds_read2_b64 v[99:102], v87 offset0:48 offset1:204
	ds_read2_b64 v[54:57], v95 offset0:24 offset1:180
	s_waitcnt vmcnt(5) lgkmcnt(4)
	v_mul_f32_e32 v40, v37, v72
	v_fma_f32 v40, v36, v71, -v40
	v_mul_f32_e32 v36, v36, v72
	v_fmac_f32_e32 v36, v37, v71
	s_waitcnt vmcnt(4)
	v_mul_f32_e32 v37, v39, v74
	v_fma_f32 v41, v38, v73, -v37
	s_waitcnt vmcnt(3) lgkmcnt(2)
	v_mul_f32_e32 v37, v47, v76
	v_fma_f32 v59, v46, v75, -v37
	s_waitcnt vmcnt(2)
	v_mul_f32_e32 v37, v49, v78
	v_fma_f32 v104, v48, v77, -v37
	s_waitcnt vmcnt(1) lgkmcnt(0)
	v_mul_f32_e32 v37, v55, v80
	v_mul_f32_e32 v58, v38, v74
	;; [unrolled: 1-line block ×3, first 2 shown]
	v_fma_f32 v105, v54, v79, -v37
	s_waitcnt vmcnt(0)
	v_mul_f32_e32 v37, v57, v82
	v_fmac_f32_e32 v58, v39, v73
	v_fmac_f32_e32 v103, v47, v75
	v_mul_f32_e32 v48, v48, v78
	v_mul_f32_e32 v106, v54, v80
	v_fma_f32 v107, v56, v81, -v37
	v_mul_f32_e32 v56, v56, v82
	v_sub_f32_e32 v38, v42, v40
	v_sub_f32_e32 v39, v43, v36
	v_fmac_f32_e32 v48, v49, v77
	v_fmac_f32_e32 v106, v55, v79
	;; [unrolled: 1-line block ×3, first 2 shown]
	v_fma_f32 v36, v42, 2.0, -v38
	v_fma_f32 v37, v43, 2.0, -v39
	v_sub_f32_e32 v42, v44, v41
	v_sub_f32_e32 v43, v45, v58
	;; [unrolled: 1-line block ×4, first 2 shown]
	v_fma_f32 v40, v44, 2.0, -v42
	v_fma_f32 v41, v45, 2.0, -v43
	;; [unrolled: 1-line block ×4, first 2 shown]
	v_sub_f32_e32 v50, v52, v104
	v_sub_f32_e32 v51, v53, v48
	;; [unrolled: 1-line block ×6, first 2 shown]
	v_fma_f32 v48, v52, 2.0, -v50
	v_fma_f32 v49, v53, 2.0, -v51
	;; [unrolled: 1-line block ×6, first 2 shown]
	ds_write2_b64 v86, v[36:37], v[40:41] offset1:156
	ds_write2_b64 v98, v[38:39], v[42:43] offset0:40 offset1:196
	ds_write2_b64 v97, v[44:45], v[48:49] offset0:56 offset1:212
	;; [unrolled: 1-line block ×5, first 2 shown]
	v_lshlrev_b32_e32 v87, 3, v83
	s_waitcnt lgkmcnt(0)
	s_barrier
	s_and_saveexec_b64 s[2:3], s[0:1]
	s_cbranch_execz .LBB0_9
; %bb.8:
	v_add_co_u32_e32 v105, vcc, s10, v84
	v_mov_b32_e32 v95, s11
	v_addc_co_u32_e32 v106, vcc, 0, v95, vcc
	v_add_co_u32_e32 v99, vcc, 0x3a80, v105
	v_addc_co_u32_e32 v100, vcc, 0, v106, vcc
	v_add_co_u32_e32 v97, vcc, s12, v105
	v_addc_co_u32_e32 v98, vcc, 0, v106, vcc
	global_load_dwordx2 v[97:98], v[97:98], off offset:2688
	ds_read_b64 v[95:96], v86
	v_add_u32_e32 v107, 0x400, v87
	s_movk_i32 s12, 0x4000
	s_waitcnt vmcnt(0) lgkmcnt(0)
	v_mul_f32_e32 v101, v96, v98
	v_mul_f32_e32 v102, v95, v98
	v_fma_f32 v101, v95, v97, -v101
	v_fmac_f32_e32 v102, v96, v97
	ds_write_b64 v86, v[101:102]
	global_load_dwordx2 v[101:102], v[99:100], off offset:1152
	ds_read2_b64 v[95:98], v107 offset0:16 offset1:160
	s_waitcnt vmcnt(0) lgkmcnt(0)
	v_mul_f32_e32 v103, v96, v102
	v_mul_f32_e32 v104, v95, v102
	v_fma_f32 v103, v95, v101, -v103
	v_fmac_f32_e32 v104, v96, v101
	global_load_dwordx2 v[95:96], v[99:100], off offset:2304
	s_waitcnt vmcnt(0)
	v_mul_f32_e32 v101, v98, v96
	global_load_dwordx2 v[99:100], v[99:100], off offset:3456
	v_mul_f32_e32 v102, v97, v96
	v_fma_f32 v101, v97, v95, -v101
	v_fmac_f32_e32 v102, v98, v95
	ds_write2_b64 v107, v[103:104], v[101:102] offset0:16 offset1:160
	v_add_u32_e32 v103, 0xc00, v87
	ds_read2_b64 v[95:98], v103 offset0:48 offset1:192
	v_add_u32_e32 v107, 0x1400, v87
	s_waitcnt vmcnt(0) lgkmcnt(0)
	v_mul_f32_e32 v101, v96, v100
	v_fma_f32 v101, v95, v99, -v101
	v_mul_f32_e32 v102, v95, v100
	v_add_co_u32_e32 v95, vcc, s12, v105
	v_fmac_f32_e32 v102, v96, v99
	v_addc_co_u32_e32 v96, vcc, 0, v106, vcc
	global_load_dwordx2 v[95:96], v[95:96], off offset:3200
	s_movk_i32 s12, 0x5000
	s_waitcnt vmcnt(0)
	v_mul_f32_e32 v99, v98, v96
	v_mul_f32_e32 v100, v97, v96
	v_fma_f32 v99, v97, v95, -v99
	v_fmac_f32_e32 v100, v98, v95
	ds_write2_b64 v103, v[101:102], v[99:100] offset0:48 offset1:192
	v_add_co_u32_e32 v99, vcc, s12, v105
	v_addc_co_u32_e32 v100, vcc, 0, v106, vcc
	global_load_dwordx2 v[101:102], v[99:100], off offset:256
	ds_read2_b64 v[95:98], v107 offset0:80 offset1:224
	s_movk_i32 s12, 0x6000
	s_waitcnt vmcnt(0) lgkmcnt(0)
	v_mul_f32_e32 v103, v96, v102
	v_mul_f32_e32 v104, v95, v102
	v_fma_f32 v103, v95, v101, -v103
	v_fmac_f32_e32 v104, v96, v101
	global_load_dwordx2 v[95:96], v[99:100], off offset:1408
	s_waitcnt vmcnt(0)
	v_mul_f32_e32 v101, v98, v96
	v_mul_f32_e32 v102, v97, v96
	v_fma_f32 v101, v97, v95, -v101
	v_fmac_f32_e32 v102, v98, v95
	ds_write2_b64 v107, v[103:104], v[101:102] offset0:80 offset1:224
	global_load_dwordx2 v[101:102], v[99:100], off offset:2560
	v_add_u32_e32 v107, 0x1e00, v87
	ds_read2_b64 v[95:98], v107 offset0:48 offset1:192
	s_waitcnt vmcnt(0) lgkmcnt(0)
	v_mul_f32_e32 v103, v96, v102
	v_mul_f32_e32 v104, v95, v102
	v_fma_f32 v103, v95, v101, -v103
	v_fmac_f32_e32 v104, v96, v101
	global_load_dwordx2 v[95:96], v[99:100], off offset:3712
	s_waitcnt vmcnt(0)
	v_mul_f32_e32 v99, v98, v96
	v_mul_f32_e32 v100, v97, v96
	v_fma_f32 v99, v97, v95, -v99
	v_fmac_f32_e32 v100, v98, v95
	ds_write2_b64 v107, v[103:104], v[99:100] offset0:48 offset1:192
	v_add_co_u32_e32 v99, vcc, s12, v105
	v_addc_co_u32_e32 v100, vcc, 0, v106, vcc
	global_load_dwordx2 v[101:102], v[99:100], off offset:768
	v_add_u32_e32 v107, 0x2800, v87
	ds_read2_b64 v[95:98], v107 offset0:16 offset1:160
	s_waitcnt vmcnt(0) lgkmcnt(0)
	v_mul_f32_e32 v103, v96, v102
	v_mul_f32_e32 v104, v95, v102
	v_fma_f32 v103, v95, v101, -v103
	v_fmac_f32_e32 v104, v96, v101
	global_load_dwordx2 v[95:96], v[99:100], off offset:1920
	s_waitcnt vmcnt(0)
	v_mul_f32_e32 v101, v98, v96
	global_load_dwordx2 v[99:100], v[99:100], off offset:3072
	v_mul_f32_e32 v102, v97, v96
	v_fma_f32 v101, v97, v95, -v101
	v_fmac_f32_e32 v102, v98, v95
	ds_write2_b64 v107, v[103:104], v[101:102] offset0:16 offset1:160
	v_add_u32_e32 v103, 0x3000, v87
	ds_read2_b64 v[95:98], v103 offset0:48 offset1:192
	s_waitcnt vmcnt(0) lgkmcnt(0)
	v_mul_f32_e32 v101, v96, v100
	v_fma_f32 v101, v95, v99, -v101
	v_mul_f32_e32 v102, v95, v100
	v_add_co_u32_e32 v95, vcc, 0x7000, v105
	v_fmac_f32_e32 v102, v96, v99
	v_addc_co_u32_e32 v96, vcc, 0, v106, vcc
	global_load_dwordx2 v[95:96], v[95:96], off offset:128
	s_waitcnt vmcnt(0)
	v_mul_f32_e32 v99, v98, v96
	v_mul_f32_e32 v100, v97, v96
	v_fma_f32 v99, v97, v95, -v99
	v_fmac_f32_e32 v100, v98, v95
	ds_write2_b64 v103, v[101:102], v[99:100] offset0:48 offset1:192
.LBB0_9:
	s_or_b64 exec, exec, s[2:3]
	s_waitcnt lgkmcnt(0)
	s_barrier
	s_and_saveexec_b64 s[2:3], s[0:1]
	s_cbranch_execz .LBB0_11
; %bb.10:
	v_add_u32_e32 v40, 0x800, v86
	v_add_u32_e32 v44, 0x1000, v86
	;; [unrolled: 1-line block ×5, first 2 shown]
	ds_read2_b64 v[36:39], v86 offset1:144
	ds_read2_b64 v[40:43], v40 offset0:32 offset1:176
	ds_read2_b64 v[44:47], v44 offset0:64 offset1:208
	;; [unrolled: 1-line block ×3, first 2 shown]
	ds_read2_b64 v[52:55], v52 offset1:144
	ds_read2_b64 v[56:59], v56 offset0:32 offset1:176
	ds_read_b64 v[61:62], v86 offset:13824
.LBB0_11:
	s_or_b64 exec, exec, s[2:3]
	s_waitcnt lgkmcnt(0)
	s_barrier
	s_and_saveexec_b64 s[2:3], s[0:1]
	s_cbranch_execz .LBB0_13
; %bb.12:
	v_sub_f32_e32 v113, v38, v61
	v_mul_f32_e32 v107, 0xbf7e222b, v113
	v_sub_f32_e32 v114, v40, v58
	v_add_f32_e32 v111, v62, v39
	v_mov_b32_e32 v95, v107
	v_mul_f32_e32 v108, 0xbe750f2a, v114
	v_fmac_f32_e32 v95, 0x3df6dbef, v111
	v_add_f32_e32 v112, v59, v41
	v_mov_b32_e32 v96, v108
	v_sub_f32_e32 v115, v42, v56
	v_add_f32_e32 v95, v37, v95
	v_fmac_f32_e32 v96, 0xbf788fa5, v112
	v_mul_f32_e32 v109, 0x3f6f5d39, v115
	v_add_f32_e32 v95, v96, v95
	v_add_f32_e32 v116, v57, v43
	v_mov_b32_e32 v96, v109
	v_sub_f32_e32 v117, v44, v54
	v_fmac_f32_e32 v96, 0xbeb58ec6, v116
	v_mul_f32_e32 v110, 0x3eedf032, v117
	v_add_f32_e32 v95, v96, v95
	v_add_f32_e32 v118, v55, v45
	v_mov_b32_e32 v96, v110
	v_sub_f32_e32 v119, v46, v52
	;; [unrolled: 6-line block ×4, first 2 shown]
	s_mov_b32 s12, 0x3df6dbef
	v_fmac_f32_e32 v96, 0xbf3f9e67, v124
	v_add_f32_e32 v125, v61, v38
	v_mul_f32_e32 v127, 0xbf7e222b, v126
	v_sub_f32_e32 v129, v41, v59
	s_mov_b32 s13, 0xbf788fa5
	v_add_f32_e32 v96, v96, v95
	v_fma_f32 v95, v125, s12, -v127
	v_add_f32_e32 v128, v58, v40
	v_mul_f32_e32 v130, 0xbe750f2a, v129
	v_sub_f32_e32 v132, v43, v57
	s_mov_b32 s14, 0xbeb58ec6
	v_add_f32_e32 v95, v36, v95
	v_fma_f32 v97, v128, s13, -v130
	;; [unrolled: 6-line block ×5, first 2 shown]
	v_add_f32_e32 v140, v50, v48
	v_mul_f32_e32 v142, 0xbf29c268, v141
	v_add_f32_e32 v95, v97, v95
	v_fma_f32 v97, v140, s17, -v142
	v_mul_f32_e32 v105, 0xbf6f5d39, v113
	v_add_f32_e32 v95, v97, v95
	v_mov_b32_e32 v97, v105
	v_mul_f32_e32 v106, 0x3f29c268, v114
	v_fmac_f32_e32 v97, 0xbeb58ec6, v111
	v_mov_b32_e32 v98, v106
	v_add_f32_e32 v97, v37, v97
	v_fmac_f32_e32 v98, 0xbf3f9e67, v112
	v_mul_f32_e32 v143, 0x3eedf032, v115
	v_add_f32_e32 v97, v98, v97
	v_mov_b32_e32 v98, v143
	v_fmac_f32_e32 v98, 0x3f62ad3f, v116
	v_mul_f32_e32 v144, 0xbf7e222b, v117
	v_add_f32_e32 v97, v98, v97
	v_mov_b32_e32 v98, v144
	;; [unrolled: 4-line block ×4, first 2 shown]
	v_fmac_f32_e32 v98, 0x3f116cb1, v124
	v_mul_f32_e32 v147, 0xbf6f5d39, v126
	v_add_f32_e32 v98, v98, v97
	v_fma_f32 v97, v125, s14, -v147
	v_mul_f32_e32 v148, 0x3f29c268, v129
	v_add_f32_e32 v97, v36, v97
	v_fma_f32 v99, v128, s17, -v148
	;; [unrolled: 3-line block ×6, first 2 shown]
	v_mul_f32_e32 v103, 0xbf29c268, v113
	v_add_f32_e32 v97, v99, v97
	v_mov_b32_e32 v99, v103
	v_mul_f32_e32 v104, 0x3f7e222b, v114
	v_fmac_f32_e32 v99, 0xbf3f9e67, v111
	v_mov_b32_e32 v100, v104
	v_add_f32_e32 v99, v37, v99
	v_fmac_f32_e32 v100, 0x3df6dbef, v112
	v_mul_f32_e32 v153, 0xbf52af12, v115
	v_add_f32_e32 v99, v100, v99
	v_mov_b32_e32 v100, v153
	v_fmac_f32_e32 v100, 0x3f116cb1, v116
	v_mul_f32_e32 v154, 0x3e750f2a, v117
	v_add_f32_e32 v99, v100, v99
	v_mov_b32_e32 v100, v154
	v_fma_f32 v107, v111, s12, -v107
	v_fmac_f32_e32 v100, 0xbf788fa5, v118
	v_mul_f32_e32 v155, 0x3eedf032, v119
	v_add_f32_e32 v107, v37, v107
	v_fma_f32 v108, v112, s13, -v108
	v_add_f32_e32 v99, v100, v99
	v_mov_b32_e32 v100, v155
	v_add_f32_e32 v107, v108, v107
	v_fma_f32 v108, v116, s14, -v109
	v_fmac_f32_e32 v100, 0x3f62ad3f, v121
	v_mul_f32_e32 v156, 0xbf6f5d39, v122
	v_add_f32_e32 v107, v108, v107
	v_fma_f32 v108, v118, s15, -v110
	v_add_f32_e32 v99, v100, v99
	v_mov_b32_e32 v100, v156
	v_add_f32_e32 v107, v108, v107
	v_fma_f32 v108, v121, s16, -v120
	v_mul_f32_e32 v120, 0x3f116cb1, v111
	v_fmac_f32_e32 v100, 0xbeb58ec6, v124
	v_mul_f32_e32 v157, 0xbf29c268, v126
	v_add_f32_e32 v107, v108, v107
	v_fma_f32 v108, v124, s17, -v123
	v_mov_b32_e32 v109, v120
	v_mul_f32_e32 v123, 0xbeb58ec6, v112
	v_add_f32_e32 v100, v100, v99
	v_fma_f32 v99, v125, s17, -v157
	v_mul_f32_e32 v158, 0x3f7e222b, v129
	v_fmac_f32_e32 v127, 0x3df6dbef, v125
	v_fmac_f32_e32 v109, 0x3f52af12, v113
	v_mov_b32_e32 v110, v123
	v_add_f32_e32 v99, v36, v99
	v_fma_f32 v101, v128, s12, -v158
	v_mul_f32_e32 v159, 0xbf52af12, v132
	v_add_f32_e32 v108, v108, v107
	v_add_f32_e32 v107, v36, v127
	v_add_f32_e32 v109, v37, v109
	v_fmac_f32_e32 v110, 0x3f6f5d39, v114
	v_mul_f32_e32 v127, 0xbf788fa5, v116
	v_add_f32_e32 v99, v101, v99
	v_fma_f32 v101, v131, s16, -v159
	v_mul_f32_e32 v160, 0x3e750f2a, v135
	v_fmac_f32_e32 v130, 0xbf788fa5, v128
	v_add_f32_e32 v109, v110, v109
	v_mov_b32_e32 v110, v127
	v_add_f32_e32 v99, v101, v99
	v_fma_f32 v101, v134, s13, -v160
	v_mul_f32_e32 v161, 0x3eedf032, v138
	v_add_f32_e32 v107, v130, v107
	v_fmac_f32_e32 v110, 0x3e750f2a, v115
	v_mul_f32_e32 v130, 0xbf3f9e67, v118
	v_add_f32_e32 v99, v101, v99
	v_fma_f32 v101, v137, s15, -v161
	v_mul_f32_e32 v162, 0xbf6f5d39, v141
	v_fmac_f32_e32 v133, 0xbeb58ec6, v131
	v_add_f32_e32 v109, v110, v109
	v_mov_b32_e32 v110, v130
	v_add_f32_e32 v99, v101, v99
	v_fma_f32 v101, v140, s14, -v162
	v_mul_f32_e32 v163, 0xbf788fa5, v111
	v_add_f32_e32 v107, v133, v107
	v_fmac_f32_e32 v110, 0xbf29c268, v117
	v_mul_f32_e32 v133, 0x3df6dbef, v121
	v_add_f32_e32 v99, v101, v99
	v_mov_b32_e32 v101, v163
	v_mul_f32_e32 v164, 0x3f62ad3f, v112
	v_fmac_f32_e32 v136, 0x3f62ad3f, v134
	v_add_f32_e32 v109, v110, v109
	v_mov_b32_e32 v110, v133
	v_fmac_f32_e32 v101, 0x3e750f2a, v113
	v_mov_b32_e32 v102, v164
	v_add_f32_e32 v107, v136, v107
	v_fmac_f32_e32 v110, 0xbf7e222b, v119
	v_mul_f32_e32 v136, 0x3f62ad3f, v124
	v_add_f32_e32 v101, v37, v101
	v_fmac_f32_e32 v102, 0xbeedf032, v114
	v_mul_f32_e32 v165, 0xbf3f9e67, v116
	v_fmac_f32_e32 v139, 0x3f116cb1, v137
	v_add_f32_e32 v109, v110, v109
	v_mov_b32_e32 v110, v136
	v_add_f32_e32 v101, v102, v101
	v_mov_b32_e32 v102, v165
	v_fma_f32 v105, v111, s14, -v105
	v_add_f32_e32 v107, v139, v107
	v_fmac_f32_e32 v142, 0xbf3f9e67, v140
	v_fmac_f32_e32 v110, 0xbeedf032, v122
	v_mul_f32_e32 v139, 0xbf52af12, v126
	v_fmac_f32_e32 v102, 0x3f29c268, v115
	v_mul_f32_e32 v166, 0x3f116cb1, v118
	v_add_f32_e32 v105, v37, v105
	v_fma_f32 v106, v112, s17, -v106
	v_add_f32_e32 v107, v142, v107
	v_add_f32_e32 v110, v110, v109
	v_mov_b32_e32 v109, v139
	v_mul_f32_e32 v142, 0xbf6f5d39, v129
	v_add_f32_e32 v101, v102, v101
	v_mov_b32_e32 v102, v166
	v_add_f32_e32 v105, v106, v105
	v_fma_f32 v106, v116, s15, -v143
	v_fmac_f32_e32 v109, 0x3f116cb1, v125
	v_mov_b32_e32 v143, v142
	v_fmac_f32_e32 v102, 0xbf52af12, v117
	v_mul_f32_e32 v167, 0xbeb58ec6, v121
	v_add_f32_e32 v109, v36, v109
	v_fmac_f32_e32 v143, 0xbeb58ec6, v128
	v_add_f32_e32 v101, v102, v101
	v_mov_b32_e32 v102, v167
	v_add_f32_e32 v109, v143, v109
	v_mul_f32_e32 v143, 0xbe750f2a, v132
	v_fmac_f32_e32 v102, 0x3f6f5d39, v119
	v_mul_f32_e32 v168, 0x3df6dbef, v124
	v_add_f32_e32 v105, v106, v105
	v_fma_f32 v106, v118, s12, -v144
	v_mov_b32_e32 v144, v143
	v_add_f32_e32 v101, v102, v101
	v_mov_b32_e32 v102, v168
	v_fmac_f32_e32 v144, 0xbf788fa5, v131
	v_fmac_f32_e32 v102, 0xbf7e222b, v122
	v_mul_f32_e32 v169, 0xbe750f2a, v126
	v_add_f32_e32 v109, v144, v109
	v_mul_f32_e32 v144, 0x3f29c268, v135
	v_add_f32_e32 v102, v102, v101
	v_mov_b32_e32 v101, v169
	v_mul_f32_e32 v170, 0x3eedf032, v129
	v_add_f32_e32 v105, v106, v105
	v_fma_f32 v106, v121, s13, -v145
	v_mov_b32_e32 v145, v144
	v_fmac_f32_e32 v101, 0xbf788fa5, v125
	v_mov_b32_e32 v171, v170
	v_fmac_f32_e32 v145, 0xbf3f9e67, v134
	v_add_f32_e32 v101, v36, v101
	v_fmac_f32_e32 v171, 0x3f62ad3f, v128
	v_add_f32_e32 v109, v145, v109
	v_mul_f32_e32 v145, 0x3f7e222b, v138
	v_add_f32_e32 v38, v38, v36
	v_fmac_f32_e32 v163, 0xbe750f2a, v113
	v_add_f32_e32 v101, v171, v101
	v_mul_f32_e32 v171, 0xbf29c268, v132
	v_add_f32_e32 v105, v106, v105
	v_fma_f32 v106, v124, s16, -v146
	v_mov_b32_e32 v146, v145
	v_add_f32_e32 v38, v40, v38
	v_add_f32_e32 v40, v37, v163
	v_fmac_f32_e32 v164, 0x3eedf032, v114
	v_mov_b32_e32 v172, v171
	v_fmac_f32_e32 v146, 0x3df6dbef, v137
	v_add_f32_e32 v40, v164, v40
	v_fmac_f32_e32 v165, 0xbf29c268, v115
	v_fmac_f32_e32 v172, 0xbf3f9e67, v131
	;; [unrolled: 1-line block ×3, first 2 shown]
	v_add_f32_e32 v109, v146, v109
	v_mul_f32_e32 v146, 0x3eedf032, v141
	v_add_f32_e32 v40, v165, v40
	v_fmac_f32_e32 v166, 0x3f52af12, v117
	v_add_f32_e32 v101, v172, v101
	v_mul_f32_e32 v172, 0x3f52af12, v135
	v_add_f32_e32 v106, v106, v105
	v_add_f32_e32 v105, v36, v147
	v_mov_b32_e32 v147, v146
	v_add_f32_e32 v40, v166, v40
	v_fmac_f32_e32 v167, 0xbf6f5d39, v119
	v_mov_b32_e32 v173, v172
	v_fmac_f32_e32 v147, 0x3f62ad3f, v140
	v_add_f32_e32 v39, v39, v37
	v_add_f32_e32 v40, v167, v40
	v_fmac_f32_e32 v168, 0x3f7e222b, v122
	v_fmac_f32_e32 v173, 0x3f116cb1, v134
	;; [unrolled: 1-line block ×3, first 2 shown]
	v_add_f32_e32 v109, v147, v109
	v_mul_f32_e32 v147, 0x3f62ad3f, v111
	v_add_f32_e32 v39, v41, v39
	v_add_f32_e32 v41, v168, v40
	v_fma_f32 v40, v125, s13, -v169
	v_add_f32_e32 v101, v173, v101
	v_mul_f32_e32 v173, 0xbf6f5d39, v138
	v_fma_f32 v103, v111, s17, -v103
	v_add_f32_e32 v105, v148, v105
	v_mov_b32_e32 v111, v147
	v_mul_f32_e32 v148, 0x3f116cb1, v112
	v_add_f32_e32 v38, v42, v38
	v_add_f32_e32 v40, v36, v40
	v_fma_f32 v42, v128, s15, -v170
	v_mov_b32_e32 v174, v173
	v_add_f32_e32 v103, v37, v103
	v_fma_f32 v104, v112, s12, -v104
	v_fmac_f32_e32 v111, 0x3eedf032, v113
	v_mov_b32_e32 v112, v148
	v_add_f32_e32 v40, v42, v40
	v_fma_f32 v42, v131, s17, -v171
	v_fmac_f32_e32 v174, 0xbeb58ec6, v137
	v_add_f32_e32 v103, v104, v103
	v_fma_f32 v104, v116, s16, -v153
	v_add_f32_e32 v111, v37, v111
	v_fmac_f32_e32 v112, 0x3f52af12, v114
	v_mul_f32_e32 v116, 0x3df6dbef, v116
	v_add_f32_e32 v40, v42, v40
	v_fma_f32 v42, v134, s16, -v172
	v_add_f32_e32 v101, v174, v101
	v_mul_f32_e32 v174, 0x3f7e222b, v141
	v_add_f32_e32 v111, v112, v111
	v_mov_b32_e32 v112, v116
	v_add_f32_e32 v40, v42, v40
	v_fma_f32 v42, v137, s14, -v173
	v_add_f32_e32 v103, v104, v103
	v_fma_f32 v104, v118, s13, -v154
	v_fmac_f32_e32 v112, 0x3f7e222b, v115
	v_mul_f32_e32 v118, 0xbeb58ec6, v118
	v_add_f32_e32 v40, v42, v40
	v_fma_f32 v42, v140, s12, -v174
	v_fmac_f32_e32 v120, 0xbf52af12, v113
	v_add_f32_e32 v111, v112, v111
	v_mov_b32_e32 v112, v118
	v_add_f32_e32 v40, v42, v40
	v_add_f32_e32 v42, v37, v120
	v_fmac_f32_e32 v123, 0xbf6f5d39, v114
	v_add_f32_e32 v103, v104, v103
	v_fma_f32 v104, v121, s15, -v155
	v_fmac_f32_e32 v112, 0x3f6f5d39, v117
	v_mul_f32_e32 v121, 0xbf3f9e67, v121
	v_add_f32_e32 v42, v123, v42
	v_fmac_f32_e32 v127, 0xbe750f2a, v115
	v_add_f32_e32 v111, v112, v111
	v_mov_b32_e32 v112, v121
	v_add_f32_e32 v42, v127, v42
	v_fmac_f32_e32 v130, 0x3f29c268, v117
	v_add_f32_e32 v103, v104, v103
	v_fma_f32 v104, v124, s14, -v156
	v_fmac_f32_e32 v112, 0x3f29c268, v119
	v_mul_f32_e32 v124, 0xbf788fa5, v124
	v_add_f32_e32 v42, v130, v42
	v_fmac_f32_e32 v133, 0x3f7e222b, v119
	v_add_f32_e32 v111, v112, v111
	v_mov_b32_e32 v112, v124
	v_add_f32_e32 v42, v133, v42
	v_fmac_f32_e32 v136, 0x3eedf032, v122
	v_fmac_f32_e32 v112, 0x3e750f2a, v122
	v_mul_f32_e32 v126, 0xbeedf032, v126
	v_add_f32_e32 v39, v43, v39
	v_add_f32_e32 v43, v136, v42
	v_fma_f32 v42, v125, s16, -v139
	v_fmac_f32_e32 v149, 0x3f62ad3f, v131
	v_add_f32_e32 v112, v112, v111
	v_mov_b32_e32 v111, v126
	v_mul_f32_e32 v129, 0xbf52af12, v129
	v_add_f32_e32 v38, v44, v38
	v_add_f32_e32 v42, v36, v42
	v_fma_f32 v44, v128, s14, -v142
	v_add_f32_e32 v105, v149, v105
	v_fmac_f32_e32 v111, 0x3f62ad3f, v125
	v_mov_b32_e32 v149, v129
	v_add_f32_e32 v42, v44, v42
	v_fma_f32 v44, v131, s13, -v143
	v_add_f32_e32 v111, v36, v111
	v_fmac_f32_e32 v149, 0x3f116cb1, v128
	v_mul_f32_e32 v132, 0xbf7e222b, v132
	v_add_f32_e32 v42, v44, v42
	v_fma_f32 v44, v134, s17, -v144
	v_add_f32_e32 v111, v149, v111
	v_mov_b32_e32 v149, v132
	v_add_f32_e32 v39, v45, v39
	v_add_f32_e32 v42, v44, v42
	v_fma_f32 v44, v137, s12, -v145
	v_fmac_f32_e32 v149, 0x3df6dbef, v131
	v_mul_f32_e32 v135, 0xbf6f5d39, v135
	v_add_f32_e32 v39, v47, v39
	v_add_f32_e32 v38, v46, v38
	;; [unrolled: 1-line block ×3, first 2 shown]
	v_fma_f32 v44, v140, s15, -v146
	v_fmac_f32_e32 v157, 0xbf3f9e67, v125
	v_add_f32_e32 v111, v149, v111
	v_mov_b32_e32 v149, v135
	v_add_f32_e32 v39, v49, v39
	v_add_f32_e32 v38, v48, v38
	;; [unrolled: 1-line block ×3, first 2 shown]
	v_fma_f32 v44, v125, s15, -v126
	v_add_f32_e32 v104, v104, v103
	v_add_f32_e32 v103, v36, v157
	v_fmac_f32_e32 v149, 0xbeb58ec6, v134
	v_mul_f32_e32 v138, 0xbf29c268, v138
	v_add_f32_e32 v39, v51, v39
	v_add_f32_e32 v38, v50, v38
	v_fmac_f32_e32 v147, 0xbeedf032, v113
	v_add_f32_e32 v36, v36, v44
	v_fma_f32 v44, v128, s16, -v129
	v_fmac_f32_e32 v158, 0x3df6dbef, v128
	v_add_f32_e32 v111, v149, v111
	v_mov_b32_e32 v149, v138
	v_add_f32_e32 v39, v53, v39
	v_add_f32_e32 v38, v52, v38
	;; [unrolled: 1-line block ×3, first 2 shown]
	v_fmac_f32_e32 v148, 0xbf52af12, v114
	v_add_f32_e32 v36, v44, v36
	v_fma_f32 v44, v131, s12, -v132
	v_add_f32_e32 v103, v158, v103
	v_fmac_f32_e32 v159, 0x3f116cb1, v131
	v_fmac_f32_e32 v149, 0xbf3f9e67, v137
	v_mul_f32_e32 v141, 0xbe750f2a, v141
	v_add_f32_e32 v39, v55, v39
	v_add_f32_e32 v38, v54, v38
	;; [unrolled: 1-line block ×3, first 2 shown]
	v_fmac_f32_e32 v116, 0xbf7e222b, v115
	v_add_f32_e32 v36, v44, v36
	v_fma_f32 v44, v134, s14, -v135
	v_add_f32_e32 v103, v159, v103
	v_fmac_f32_e32 v160, 0xbf788fa5, v134
	v_fmac_f32_e32 v150, 0x3df6dbef, v134
	v_add_f32_e32 v111, v149, v111
	v_mov_b32_e32 v149, v141
	v_add_f32_e32 v39, v57, v39
	v_add_f32_e32 v38, v56, v38
	;; [unrolled: 1-line block ×3, first 2 shown]
	v_fmac_f32_e32 v118, 0xbf6f5d39, v117
	v_add_f32_e32 v36, v44, v36
	v_fma_f32 v44, v137, s17, -v138
	v_mov_b32_e32 v175, v174
	v_add_f32_e32 v103, v160, v103
	v_fmac_f32_e32 v161, 0x3f62ad3f, v137
	v_add_f32_e32 v105, v150, v105
	v_fmac_f32_e32 v151, 0xbf788fa5, v137
	v_fmac_f32_e32 v149, 0xbf788fa5, v140
	v_add_f32_e32 v39, v59, v39
	v_add_f32_e32 v38, v58, v38
	;; [unrolled: 1-line block ×3, first 2 shown]
	v_fmac_f32_e32 v121, 0xbf29c268, v119
	v_add_f32_e32 v36, v44, v36
	v_fma_f32 v44, v140, s13, -v141
	v_fmac_f32_e32 v175, 0x3df6dbef, v140
	v_add_f32_e32 v103, v161, v103
	v_fmac_f32_e32 v162, 0xbeb58ec6, v140
	v_add_f32_e32 v105, v151, v105
	;; [unrolled: 2-line block ×3, first 2 shown]
	v_add_f32_e32 v39, v62, v39
	v_add_f32_e32 v38, v61, v38
	v_add_f32_e32 v37, v121, v37
	v_fmac_f32_e32 v124, 0xbe750f2a, v122
	v_add_f32_e32 v36, v44, v36
	v_lshlrev_b32_e32 v44, 3, v85
	v_add_f32_e32 v101, v175, v101
	v_add_f32_e32 v103, v162, v103
	;; [unrolled: 1-line block ×4, first 2 shown]
	ds_write2_b64 v44, v[38:39], v[111:112] offset1:1
	ds_write2_b64 v44, v[109:110], v[107:108] offset0:2 offset1:3
	ds_write2_b64 v44, v[105:106], v[103:104] offset0:4 offset1:5
	;; [unrolled: 1-line block ×5, first 2 shown]
	ds_write_b64 v44, v[36:37] offset:96
.LBB0_13:
	s_or_b64 exec, exec, s[2:3]
	v_add_u32_e32 v36, 0x1200, v86
	s_waitcnt lgkmcnt(0)
	s_barrier
	ds_read2_b64 v[45:48], v36 offset0:48 offset1:204
	v_add_u32_e32 v37, 0x2400, v86
	ds_read2_b64 v[49:52], v37 offset0:96 offset1:252
	v_add_u32_e32 v40, 0x1c00, v86
	;; [unrolled: 2-line block ×3, first 2 shown]
	ds_read2_b64 v[99:102], v38 offset0:24 offset1:180
	s_waitcnt lgkmcnt(3)
	v_mul_f32_e32 v57, v5, v46
	v_mul_f32_e32 v5, v5, v45
	v_add_u32_e32 v39, 0x800, v86
	v_fma_f32 v5, v4, v46, -v5
	v_mul_f32_e32 v46, v1, v48
	v_mul_f32_e32 v1, v1, v47
	ds_read2_b64 v[41:44], v86 offset1:156
	ds_read2_b64 v[53:56], v39 offset0:56 offset1:212
	v_fmac_f32_e32 v57, v4, v45
	s_waitcnt lgkmcnt(4)
	v_mul_f32_e32 v45, v7, v50
	v_fmac_f32_e32 v46, v0, v47
	v_fma_f32 v47, v0, v48, -v1
	v_mul_f32_e32 v0, v3, v51
	v_fmac_f32_e32 v45, v6, v49
	v_mul_f32_e32 v4, v7, v49
	v_mul_f32_e32 v48, v3, v52
	v_fma_f32 v49, v2, v52, -v0
	s_waitcnt lgkmcnt(3)
	v_mul_f32_e32 v0, v13, v95
	v_fma_f32 v6, v6, v50, -v4
	v_fmac_f32_e32 v48, v2, v51
	v_mul_f32_e32 v50, v13, v96
	v_fma_f32 v13, v12, v96, -v0
	s_waitcnt lgkmcnt(2)
	v_mul_f32_e32 v51, v15, v100
	v_mul_f32_e32 v0, v15, v99
	v_fmac_f32_e32 v50, v12, v95
	v_fmac_f32_e32 v51, v14, v99
	v_fma_f32 v15, v14, v100, -v0
	v_mul_f32_e32 v0, v9, v97
	v_fma_f32 v58, v8, v98, -v0
	v_mul_f32_e32 v59, v11, v102
	v_mul_f32_e32 v0, v11, v101
	v_add_f32_e32 v1, v57, v45
	v_add_f32_e32 v11, v50, v51
	s_waitcnt lgkmcnt(1)
	v_fma_f32 v2, -0.5, v1, v41
	s_waitcnt lgkmcnt(0)
	v_fma_f32 v12, -0.5, v11, v53
	v_sub_f32_e32 v1, v5, v6
	v_mov_b32_e32 v4, v2
	v_add_f32_e32 v3, v5, v6
	v_sub_f32_e32 v11, v13, v15
	v_mov_b32_e32 v14, v12
	v_mul_f32_e32 v52, v9, v98
	v_fmac_f32_e32 v4, 0xbf5db3d7, v1
	v_fmac_f32_e32 v2, 0x3f5db3d7, v1
	v_add_f32_e32 v1, v42, v5
	v_fma_f32 v3, -0.5, v3, v42
	v_fmac_f32_e32 v14, 0xbf5db3d7, v11
	v_fmac_f32_e32 v12, 0x3f5db3d7, v11
	v_add_f32_e32 v11, v54, v13
	v_add_f32_e32 v13, v13, v15
	v_fmac_f32_e32 v52, v8, v97
	v_fmac_f32_e32 v59, v10, v101
	v_add_f32_e32 v1, v1, v6
	v_sub_f32_e32 v6, v57, v45
	v_mov_b32_e32 v5, v3
	v_add_f32_e32 v7, v46, v48
	v_fma_f32 v13, -0.5, v13, v54
	v_fma_f32 v61, v10, v102, -v0
	v_add_f32_e32 v0, v41, v57
	v_fmac_f32_e32 v5, 0x3f5db3d7, v6
	v_fmac_f32_e32 v3, 0xbf5db3d7, v6
	v_add_f32_e32 v6, v43, v46
	v_fma_f32 v43, -0.5, v7, v43
	v_add_f32_e32 v11, v11, v15
	v_sub_f32_e32 v41, v50, v51
	v_mov_b32_e32 v15, v13
	v_add_f32_e32 v42, v52, v59
	v_sub_f32_e32 v7, v47, v49
	v_mov_b32_e32 v8, v43
	v_add_f32_e32 v9, v47, v49
	v_fmac_f32_e32 v15, 0x3f5db3d7, v41
	v_fmac_f32_e32 v13, 0xbf5db3d7, v41
	v_add_f32_e32 v41, v55, v52
	v_fma_f32 v55, -0.5, v42, v55
	v_add_f32_e32 v0, v0, v45
	v_fmac_f32_e32 v8, 0xbf5db3d7, v7
	v_fmac_f32_e32 v43, 0x3f5db3d7, v7
	v_add_f32_e32 v7, v44, v47
	v_fmac_f32_e32 v44, -0.5, v9
	v_sub_f32_e32 v10, v46, v48
	v_sub_f32_e32 v42, v58, v61
	v_mov_b32_e32 v45, v55
	v_add_f32_e32 v46, v58, v61
	v_mov_b32_e32 v9, v44
	v_fmac_f32_e32 v45, 0xbf5db3d7, v42
	v_fmac_f32_e32 v55, 0x3f5db3d7, v42
	v_add_f32_e32 v42, v56, v58
	v_fmac_f32_e32 v56, -0.5, v46
	v_fmac_f32_e32 v9, 0x3f5db3d7, v10
	v_fmac_f32_e32 v44, 0xbf5db3d7, v10
	v_add_f32_e32 v10, v53, v50
	v_sub_f32_e32 v47, v52, v59
	v_mov_b32_e32 v46, v56
	v_add_f32_e32 v6, v6, v48
	v_add_f32_e32 v7, v7, v49
	v_add_f32_e32 v10, v10, v51
	v_add_f32_e32 v41, v41, v59
	v_add_f32_e32 v42, v42, v61
	v_fmac_f32_e32 v46, 0x3f5db3d7, v47
	v_fmac_f32_e32 v56, 0xbf5db3d7, v47
	s_barrier
	ds_write2_b64 v88, v[0:1], v[4:5] offset1:13
	ds_write_b64 v88, v[2:3] offset:208
	ds_write2_b64 v89, v[6:7], v[8:9] offset1:13
	ds_write_b64 v89, v[43:44] offset:208
	;; [unrolled: 2-line block ×4, first 2 shown]
	s_waitcnt lgkmcnt(0)
	s_barrier
	ds_read2_b64 v[0:3], v86 offset1:156
	ds_read2_b64 v[4:7], v39 offset0:56 offset1:212
	ds_read2_b64 v[8:11], v40 offset0:40 offset1:196
	;; [unrolled: 1-line block ×5, first 2 shown]
	s_waitcnt lgkmcnt(4)
	v_mul_f32_e32 v49, v17, v7
	v_fmac_f32_e32 v49, v16, v6
	v_mul_f32_e32 v6, v17, v6
	v_fma_f32 v6, v16, v7, -v6
	s_waitcnt lgkmcnt(3)
	v_mul_f32_e32 v7, v19, v9
	v_fmac_f32_e32 v7, v18, v8
	v_mul_f32_e32 v8, v19, v8
	v_fma_f32 v8, v18, v9, -v8
	s_waitcnt lgkmcnt(2)
	v_mul_f32_e32 v9, v64, v15
	v_mul_f32_e32 v17, v23, v11
	v_fmac_f32_e32 v9, v63, v14
	v_mul_f32_e32 v14, v64, v14
	v_fmac_f32_e32 v17, v22, v10
	v_mul_f32_e32 v10, v23, v10
	v_fma_f32 v14, v63, v15, -v14
	s_waitcnt lgkmcnt(1)
	v_mul_f32_e32 v15, v21, v42
	v_mul_f32_e32 v16, v21, v41
	v_fma_f32 v18, v22, v11, -v10
	s_waitcnt lgkmcnt(0)
	v_mul_f32_e32 v10, v66, v45
	v_fmac_f32_e32 v15, v20, v41
	v_fma_f32 v16, v20, v42, -v16
	v_fma_f32 v20, v65, v46, -v10
	v_mul_f32_e32 v10, v25, v43
	v_mul_f32_e32 v21, v25, v44
	v_fma_f32 v22, v24, v44, -v10
	v_mul_f32_e32 v10, v27, v12
	v_fmac_f32_e32 v21, v24, v43
	v_mul_f32_e32 v23, v27, v13
	v_fma_f32 v24, v26, v13, -v10
	v_mul_f32_e32 v10, v68, v47
	v_mul_f32_e32 v19, v66, v46
	v_fmac_f32_e32 v23, v26, v12
	v_fma_f32 v26, v67, v48, -v10
	v_sub_f32_e32 v10, v0, v7
	v_sub_f32_e32 v11, v1, v8
	;; [unrolled: 1-line block ×4, first 2 shown]
	v_fmac_f32_e32 v19, v65, v45
	v_mul_f32_e32 v25, v68, v48
	v_fma_f32 v7, v0, 2.0, -v10
	v_fma_f32 v8, v1, 2.0, -v11
	;; [unrolled: 1-line block ×4, first 2 shown]
	v_fmac_f32_e32 v25, v67, v47
	v_sub_f32_e32 v0, v7, v0
	v_sub_f32_e32 v1, v8, v1
	;; [unrolled: 1-line block ×6, first 2 shown]
	v_fma_f32 v6, v7, 2.0, -v0
	v_fma_f32 v7, v8, 2.0, -v1
	v_add_f32_e32 v8, v10, v12
	v_fma_f32 v12, v2, 2.0, -v17
	v_fma_f32 v13, v3, 2.0, -v18
	;; [unrolled: 1-line block ×4, first 2 shown]
	v_add_f32_e32 v14, v17, v14
	v_sub_f32_e32 v15, v18, v19
	v_sub_f32_e32 v23, v4, v23
	;; [unrolled: 1-line block ×5, first 2 shown]
	v_fma_f32 v16, v17, 2.0, -v14
	v_fma_f32 v17, v18, 2.0, -v15
	;; [unrolled: 1-line block ×6, first 2 shown]
	v_sub_f32_e32 v9, v11, v9
	v_sub_f32_e32 v2, v12, v2
	;; [unrolled: 1-line block ×5, first 2 shown]
	v_add_f32_e32 v20, v23, v20
	v_sub_f32_e32 v21, v24, v25
	v_fma_f32 v10, v10, 2.0, -v8
	v_fma_f32 v11, v11, 2.0, -v9
	;; [unrolled: 1-line block ×8, first 2 shown]
	s_barrier
	ds_write2_b64 v92, v[6:7], v[10:11] offset1:39
	ds_write2_b64 v92, v[0:1], v[8:9] offset0:78 offset1:117
	ds_write2_b64 v93, v[12:13], v[16:17] offset1:39
	ds_write2_b64 v93, v[2:3], v[14:15] offset0:78 offset1:117
	ds_write2_b64 v94, v[18:19], v[22:23] offset1:39
	ds_write2_b64 v94, v[4:5], v[20:21] offset0:78 offset1:117
	s_waitcnt lgkmcnt(0)
	s_barrier
	ds_read2_b64 v[0:3], v86 offset1:156
	ds_read2_b64 v[4:7], v39 offset0:56 offset1:212
	ds_read2_b64 v[8:11], v36 offset0:48 offset1:204
	;; [unrolled: 1-line block ×5, first 2 shown]
	s_waitcnt lgkmcnt(4)
	v_mul_f32_e32 v24, v33, v5
	v_fmac_f32_e32 v24, v32, v4
	v_mul_f32_e32 v4, v33, v4
	v_fma_f32 v25, v32, v5, -v4
	s_waitcnt lgkmcnt(3)
	v_mul_f32_e32 v4, v35, v9
	v_fmac_f32_e32 v4, v34, v8
	v_mul_f32_e32 v5, v35, v8
	s_waitcnt lgkmcnt(2)
	v_mul_f32_e32 v8, v29, v13
	v_fma_f32 v5, v34, v9, -v5
	v_fmac_f32_e32 v8, v28, v12
	v_mul_f32_e32 v9, v29, v12
	s_waitcnt lgkmcnt(1)
	v_mul_f32_e32 v12, v31, v17
	v_fma_f32 v9, v28, v13, -v9
	;; [unrolled: 5-line block ×3, first 2 shown]
	v_fmac_f32_e32 v16, v69, v20
	v_mul_f32_e32 v17, v70, v20
	v_mul_f32_e32 v20, v33, v7
	v_fmac_f32_e32 v20, v32, v6
	v_mul_f32_e32 v6, v33, v6
	v_fma_f32 v17, v69, v21, -v17
	v_fma_f32 v21, v32, v7, -v6
	v_mul_f32_e32 v6, v35, v10
	v_fma_f32 v27, v34, v11, -v6
	v_mul_f32_e32 v32, v29, v15
	v_mul_f32_e32 v6, v29, v14
	v_fmac_f32_e32 v32, v28, v14
	v_fma_f32 v14, v28, v15, -v6
	v_mul_f32_e32 v15, v31, v19
	v_mul_f32_e32 v6, v31, v18
	v_fmac_f32_e32 v15, v30, v18
	v_fma_f32 v18, v30, v19, -v6
	v_mul_f32_e32 v19, v70, v23
	v_mul_f32_e32 v6, v70, v22
	;; [unrolled: 1-line block ×3, first 2 shown]
	v_fmac_f32_e32 v19, v69, v22
	v_fma_f32 v22, v69, v23, -v6
	v_add_f32_e32 v6, v0, v4
	v_fmac_f32_e32 v26, v34, v10
	v_add_f32_e32 v10, v6, v12
	v_add_f32_e32 v6, v4, v12
	v_fma_f32 v11, -0.5, v6, v0
	v_sub_f32_e32 v0, v5, v13
	v_mov_b32_e32 v23, v11
	v_fmac_f32_e32 v23, 0xbf5db3d7, v0
	v_fmac_f32_e32 v11, 0x3f5db3d7, v0
	v_add_f32_e32 v0, v1, v5
	v_add_f32_e32 v28, v0, v13
	;; [unrolled: 1-line block ×3, first 2 shown]
	v_fma_f32 v13, -0.5, v0, v1
	v_sub_f32_e32 v0, v4, v12
	v_mov_b32_e32 v29, v13
	v_fmac_f32_e32 v29, 0x3f5db3d7, v0
	v_fmac_f32_e32 v13, 0xbf5db3d7, v0
	v_add_f32_e32 v0, v24, v8
	v_add_f32_e32 v12, v0, v16
	;; [unrolled: 1-line block ×3, first 2 shown]
	v_fmac_f32_e32 v24, -0.5, v0
	v_sub_f32_e32 v0, v9, v17
	v_mov_b32_e32 v5, v24
	v_fmac_f32_e32 v5, 0xbf5db3d7, v0
	v_fmac_f32_e32 v24, 0x3f5db3d7, v0
	v_add_f32_e32 v0, v25, v9
	v_add_f32_e32 v30, v0, v17
	;; [unrolled: 1-line block ×3, first 2 shown]
	v_fmac_f32_e32 v25, -0.5, v0
	v_sub_f32_e32 v0, v8, v16
	v_mov_b32_e32 v7, v25
	v_fmac_f32_e32 v25, 0xbf5db3d7, v0
	v_fmac_f32_e32 v7, 0x3f5db3d7, v0
	v_mul_f32_e32 v16, 0xbf5db3d7, v25
	v_mul_f32_e32 v9, 0xbf5db3d7, v7
	v_fmac_f32_e32 v16, -0.5, v24
	v_add_f32_e32 v0, v10, v12
	v_fmac_f32_e32 v9, 0.5, v5
	v_add_f32_e32 v6, v11, v16
	v_sub_f32_e32 v8, v10, v12
	v_sub_f32_e32 v12, v11, v16
	v_add_f32_e32 v16, v2, v26
	v_add_f32_e32 v4, v23, v9
	v_sub_f32_e32 v10, v23, v9
	v_add_f32_e32 v23, v16, v15
	v_add_f32_e32 v16, v26, v15
	v_mul_f32_e32 v25, -0.5, v25
	v_fma_f32 v2, -0.5, v16, v2
	v_fmac_f32_e32 v25, 0x3f5db3d7, v24
	v_sub_f32_e32 v16, v27, v18
	v_mov_b32_e32 v24, v2
	v_fmac_f32_e32 v24, 0xbf5db3d7, v16
	v_fmac_f32_e32 v2, 0x3f5db3d7, v16
	v_add_f32_e32 v16, v3, v27
	v_mul_f32_e32 v17, 0.5, v7
	v_add_f32_e32 v7, v13, v25
	v_sub_f32_e32 v13, v13, v25
	v_add_f32_e32 v25, v16, v18
	v_add_f32_e32 v16, v27, v18
	v_fmac_f32_e32 v3, -0.5, v16
	v_sub_f32_e32 v15, v26, v15
	v_mov_b32_e32 v26, v3
	v_fmac_f32_e32 v26, 0x3f5db3d7, v15
	v_fmac_f32_e32 v3, 0xbf5db3d7, v15
	v_add_f32_e32 v15, v20, v32
	v_add_f32_e32 v27, v15, v19
	;; [unrolled: 1-line block ×3, first 2 shown]
	v_fmac_f32_e32 v17, 0x3f5db3d7, v5
	v_fmac_f32_e32 v20, -0.5, v15
	v_add_f32_e32 v5, v29, v17
	v_sub_f32_e32 v11, v29, v17
	v_sub_f32_e32 v15, v14, v22
	v_mov_b32_e32 v17, v20
	v_fmac_f32_e32 v17, 0xbf5db3d7, v15
	v_fmac_f32_e32 v20, 0x3f5db3d7, v15
	v_add_f32_e32 v15, v21, v14
	v_add_f32_e32 v14, v14, v22
	v_fmac_f32_e32 v21, -0.5, v14
	v_sub_f32_e32 v14, v32, v19
	v_mov_b32_e32 v19, v21
	v_fmac_f32_e32 v19, 0x3f5db3d7, v14
	v_fmac_f32_e32 v21, 0xbf5db3d7, v14
	v_add_f32_e32 v1, v28, v30
	v_sub_f32_e32 v9, v28, v30
	v_add_f32_e32 v28, v15, v22
	v_mul_f32_e32 v22, 0xbf5db3d7, v19
	v_mul_f32_e32 v29, 0xbf5db3d7, v21
	v_mul_f32_e32 v30, 0.5, v19
	v_mul_f32_e32 v31, -0.5, v21
	v_fmac_f32_e32 v22, 0.5, v17
	v_fmac_f32_e32 v29, -0.5, v20
	v_fmac_f32_e32 v30, 0x3f5db3d7, v17
	v_fmac_f32_e32 v31, 0x3f5db3d7, v20
	v_add_f32_e32 v14, v23, v27
	v_add_f32_e32 v16, v24, v22
	;; [unrolled: 1-line block ×6, first 2 shown]
	v_sub_f32_e32 v20, v23, v27
	v_sub_f32_e32 v22, v24, v22
	;; [unrolled: 1-line block ×6, first 2 shown]
	s_barrier
	ds_write2_b64 v86, v[0:1], v[4:5] offset1:156
	ds_write2_b64 v39, v[6:7], v[8:9] offset0:56 offset1:212
	ds_write2_b64 v36, v[10:11], v[12:13] offset0:48 offset1:204
	;; [unrolled: 1-line block ×5, first 2 shown]
	s_waitcnt lgkmcnt(0)
	s_barrier
	ds_read2_b64 v[0:3], v86 offset1:156
	ds_read2_b64 v[4:7], v40 offset0:40 offset1:196
	ds_read2_b64 v[8:11], v39 offset0:56 offset1:212
	;; [unrolled: 1-line block ×5, first 2 shown]
	s_waitcnt lgkmcnt(4)
	v_mul_f32_e32 v24, v72, v5
	v_fmac_f32_e32 v24, v71, v4
	v_mul_f32_e32 v4, v72, v4
	v_fma_f32 v5, v71, v5, -v4
	v_mul_f32_e32 v4, v74, v6
	v_mul_f32_e32 v25, v74, v7
	v_fma_f32 v7, v73, v7, -v4
	s_waitcnt lgkmcnt(2)
	v_mul_f32_e32 v4, v76, v12
	v_mul_f32_e32 v26, v76, v13
	v_fma_f32 v13, v75, v13, -v4
	v_mul_f32_e32 v4, v78, v14
	v_mul_f32_e32 v27, v78, v15
	v_fma_f32 v15, v77, v15, -v4
	s_waitcnt lgkmcnt(0)
	v_mul_f32_e32 v4, v80, v20
	v_fmac_f32_e32 v25, v73, v6
	v_mul_f32_e32 v28, v80, v21
	v_fma_f32 v21, v79, v21, -v4
	v_mul_f32_e32 v29, v82, v23
	v_mul_f32_e32 v4, v82, v22
	v_fmac_f32_e32 v26, v75, v12
	v_fmac_f32_e32 v27, v77, v14
	;; [unrolled: 1-line block ×4, first 2 shown]
	v_fma_f32 v23, v81, v23, -v4
	v_sub_f32_e32 v4, v0, v24
	v_sub_f32_e32 v5, v1, v5
	;; [unrolled: 1-line block ×4, first 2 shown]
	s_movk_i32 s2, 0x3000
	v_fma_f32 v0, v0, 2.0, -v4
	v_fma_f32 v1, v1, 2.0, -v5
	;; [unrolled: 1-line block ×4, first 2 shown]
	v_sub_f32_e32 v12, v8, v26
	v_sub_f32_e32 v13, v9, v13
	;; [unrolled: 1-line block ×8, first 2 shown]
	v_fma_f32 v8, v8, 2.0, -v12
	v_fma_f32 v9, v9, 2.0, -v13
	;; [unrolled: 1-line block ×8, first 2 shown]
	ds_write2_b64 v86, v[0:1], v[2:3] offset1:156
	ds_write2_b64 v40, v[4:5], v[6:7] offset0:40 offset1:196
	ds_write2_b64 v39, v[8:9], v[10:11] offset0:56 offset1:212
	;; [unrolled: 1-line block ×5, first 2 shown]
	s_waitcnt lgkmcnt(0)
	s_barrier
	s_and_b64 exec, exec, s[0:1]
	s_cbranch_execz .LBB0_15
; %bb.14:
	global_load_dwordx2 v[8:9], v84, s[10:11]
	global_load_dwordx2 v[10:11], v84, s[10:11] offset:1152
	global_load_dwordx2 v[12:13], v84, s[10:11] offset:2304
	global_load_dwordx2 v[14:15], v84, s[10:11] offset:3456
	v_mov_b32_e32 v0, s11
	v_add_co_u32_e32 v35, vcc, s10, v84
	s_movk_i32 s11, 0x1000
	v_addc_co_u32_e32 v36, vcc, 0, v0, vcc
	v_add_co_u32_e32 v22, vcc, s11, v35
	v_addc_co_u32_e32 v23, vcc, 0, v36, vcc
	global_load_dwordx2 v[24:25], v[22:23], off offset:512
	ds_read_b64 v[18:19], v86
	v_mad_u64_u32 v[16:17], s[0:1], s6, v60, 0
	v_mad_u64_u32 v[20:21], s[12:13], s4, v83, 0
	v_mov_b32_e32 v34, s9
	s_mul_i32 s6, s5, 0x480
	s_mul_hi_u32 s9, s4, 0x480
	s_mul_i32 s3, s4, 0x480
	s_add_i32 s4, s9, s6
	s_waitcnt lgkmcnt(0)
	v_mad_u64_u32 v[26:27], s[6:7], s7, v60, v[17:18]
	v_add_u32_e32 v1, 0x400, v87
	v_add_u32_e32 v4, 0xc00, v87
	v_mad_u64_u32 v[27:28], s[6:7], s5, v83, v[21:22]
	ds_read2_b64 v[0:3], v1 offset0:16 offset1:160
	ds_read2_b64 v[4:7], v4 offset0:48 offset1:192
	global_load_dwordx2 v[28:29], v[22:23], off offset:1664
	global_load_dwordx2 v[30:31], v[22:23], off offset:2816
	;; [unrolled: 1-line block ×3, first 2 shown]
	v_mov_b32_e32 v17, v26
	v_mov_b32_e32 v21, v27
	s_mov_b32 s0, 0x11811812
	s_mov_b32 s1, 0x3f418118
	v_lshlrev_b64 v[16:17], 3, v[16:17]
	v_lshlrev_b64 v[20:21], 3, v[20:21]
	v_add_co_u32_e32 v16, vcc, s8, v16
	v_addc_co_u32_e32 v17, vcc, v34, v17, vcc
	v_add_co_u32_e32 v16, vcc, v16, v20
	v_addc_co_u32_e32 v17, vcc, v17, v21, vcc
	v_mov_b32_e32 v37, s4
	v_add_co_u32_e32 v20, vcc, s3, v16
	v_addc_co_u32_e32 v21, vcc, v17, v37, vcc
	v_mov_b32_e32 v38, s4
	s_movk_i32 s5, 0x2000
	s_waitcnt vmcnt(7)
	v_mul_f32_e32 v22, v19, v9
	v_mul_f32_e32 v9, v18, v9
	s_waitcnt vmcnt(6) lgkmcnt(1)
	v_mul_f32_e32 v23, v1, v11
	v_mul_f32_e32 v11, v0, v11
	s_waitcnt vmcnt(5)
	v_mul_f32_e32 v26, v3, v13
	v_mul_f32_e32 v13, v2, v13
	v_fmac_f32_e32 v22, v18, v8
	v_fma_f32 v8, v8, v19, -v9
	s_waitcnt vmcnt(4) lgkmcnt(0)
	v_mul_f32_e32 v27, v5, v15
	v_mul_f32_e32 v15, v4, v15
	v_fmac_f32_e32 v23, v0, v10
	v_fma_f32 v9, v10, v1, -v11
	v_fmac_f32_e32 v26, v2, v12
	v_fma_f32 v12, v12, v3, -v13
	v_cvt_f64_f32_e32 v[0:1], v22
	v_cvt_f64_f32_e32 v[2:3], v8
	v_fmac_f32_e32 v27, v4, v14
	v_fma_f32 v18, v14, v5, -v15
	v_cvt_f64_f32_e32 v[4:5], v23
	v_cvt_f64_f32_e32 v[8:9], v9
	;; [unrolled: 1-line block ×4, first 2 shown]
	v_mul_f64 v[0:1], v[0:1], s[0:1]
	v_mul_f64 v[2:3], v[2:3], s[0:1]
	;; [unrolled: 1-line block ×6, first 2 shown]
	v_cvt_f64_f32_e32 v[14:15], v27
	v_cvt_f64_f32_e32 v[18:19], v18
	v_cvt_f32_f64_e32 v0, v[0:1]
	v_cvt_f32_f64_e32 v1, v[2:3]
	v_cvt_f32_f64_e32 v2, v[4:5]
	v_cvt_f32_f64_e32 v3, v[8:9]
	v_add_co_u32_e32 v8, vcc, s3, v20
	v_addc_co_u32_e32 v9, vcc, v21, v38, vcc
	v_cvt_f32_f64_e32 v4, v[10:11]
	v_add_co_u32_e32 v10, vcc, s5, v35
	v_cvt_f32_f64_e32 v5, v[12:13]
	global_store_dwordx2 v[16:17], v[0:1], off
	global_store_dwordx2 v[20:21], v[2:3], off
	v_addc_co_u32_e32 v11, vcc, 0, v36, vcc
	global_load_dwordx2 v[12:13], v[10:11], off offset:1024
	global_load_dwordx2 v[16:17], v[10:11], off offset:2176
	v_mul_f64 v[0:1], v[14:15], s[0:1]
	global_store_dwordx2 v[8:9], v[4:5], off
	s_waitcnt vmcnt(8)
	v_mul_f32_e32 v4, v7, v25
	v_mul_f64 v[2:3], v[18:19], s[0:1]
	v_fmac_f32_e32 v4, v6, v24
	v_cvt_f64_f32_e32 v[4:5], v4
	v_mov_b32_e32 v18, s4
	v_add_co_u32_e32 v8, vcc, s3, v8
	v_cvt_f32_f64_e32 v14, v[0:1]
	v_mul_f64 v[4:5], v[4:5], s[0:1]
	v_mul_f32_e32 v0, v6, v25
	v_fma_f32 v0, v24, v7, -v0
	v_cvt_f64_f32_e32 v[6:7], v0
	v_add_u32_e32 v0, 0x1400, v87
	v_cvt_f32_f64_e32 v15, v[2:3]
	ds_read2_b64 v[0:3], v0 offset0:80 offset1:224
	v_mul_f64 v[6:7], v[6:7], s[0:1]
	v_cvt_f32_f64_e32 v4, v[4:5]
	v_addc_co_u32_e32 v9, vcc, v9, v18, vcc
	s_waitcnt vmcnt(7) lgkmcnt(0)
	v_mul_f32_e32 v5, v1, v29
	v_fmac_f32_e32 v5, v0, v28
	global_store_dwordx2 v[8:9], v[14:15], off
	v_cvt_f64_f32_e32 v[14:15], v5
	v_add_co_u32_e32 v8, vcc, s3, v8
	v_addc_co_u32_e32 v9, vcc, v9, v18, vcc
	v_cvt_f32_f64_e32 v5, v[6:7]
	v_mul_f64 v[6:7], v[14:15], s[0:1]
	v_add_co_u32_e32 v14, vcc, s2, v35
	v_addc_co_u32_e32 v15, vcc, 0, v36, vcc
	global_load_dwordx2 v[18:19], v[14:15], off offset:384
	v_mul_f32_e32 v0, v0, v29
	global_load_dwordx2 v[10:11], v[10:11], off offset:3328
	v_fma_f32 v0, v28, v1, -v0
	v_cvt_f64_f32_e32 v[0:1], v0
	global_store_dwordx2 v[8:9], v[4:5], off
	v_cvt_f32_f64_e32 v4, v[6:7]
	v_mov_b32_e32 v22, s4
	v_mul_f64 v[0:1], v[0:1], s[0:1]
	v_add_co_u32_e32 v8, vcc, s3, v8
	v_addc_co_u32_e32 v9, vcc, v9, v22, vcc
	v_cvt_f32_f64_e32 v5, v[0:1]
	s_waitcnt vmcnt(10)
	v_mul_f32_e32 v0, v3, v31
	v_fmac_f32_e32 v0, v2, v30
	v_cvt_f64_f32_e32 v[6:7], v0
	v_mul_f32_e32 v0, v2, v31
	v_fma_f32 v0, v30, v3, -v0
	v_cvt_f64_f32_e32 v[20:21], v0
	v_add_u32_e32 v0, 0x1e00, v87
	ds_read2_b64 v[0:3], v0 offset0:48 offset1:192
	global_store_dwordx2 v[8:9], v[4:5], off
	v_mul_f64 v[4:5], v[6:7], s[0:1]
	v_mul_f64 v[6:7], v[20:21], s[0:1]
	v_add_co_u32_e32 v8, vcc, s3, v8
	s_waitcnt vmcnt(10) lgkmcnt(0)
	v_mul_f32_e32 v20, v1, v33
	v_fmac_f32_e32 v20, v0, v32
	v_mul_f32_e32 v0, v0, v33
	v_fma_f32 v0, v32, v1, -v0
	v_cvt_f64_f32_e32 v[0:1], v0
	v_cvt_f64_f32_e32 v[20:21], v20
	v_cvt_f32_f64_e32 v4, v[4:5]
	v_cvt_f32_f64_e32 v5, v[6:7]
	v_mul_f64 v[0:1], v[0:1], s[0:1]
	v_mul_f64 v[6:7], v[20:21], s[0:1]
	v_mov_b32_e32 v20, s4
	v_addc_co_u32_e32 v9, vcc, v9, v20, vcc
	global_store_dwordx2 v[8:9], v[4:5], off
	v_add_co_u32_e32 v8, vcc, s3, v8
	v_cvt_f32_f64_e32 v5, v[0:1]
	s_waitcnt vmcnt(8)
	v_mul_f32_e32 v0, v3, v13
	v_fmac_f32_e32 v0, v2, v12
	v_cvt_f32_f64_e32 v4, v[6:7]
	v_cvt_f64_f32_e32 v[6:7], v0
	v_mul_f32_e32 v0, v2, v13
	v_fma_f32 v0, v12, v3, -v0
	v_cvt_f64_f32_e32 v[12:13], v0
	v_add_u32_e32 v0, 0x2800, v87
	ds_read2_b64 v[0:3], v0 offset0:16 offset1:160
	v_addc_co_u32_e32 v9, vcc, v9, v20, vcc
	global_store_dwordx2 v[8:9], v[4:5], off
	v_mul_f64 v[4:5], v[6:7], s[0:1]
	v_mul_f64 v[6:7], v[12:13], s[0:1]
	s_waitcnt vmcnt(8) lgkmcnt(0)
	v_mul_f32_e32 v12, v1, v17
	v_fmac_f32_e32 v12, v0, v16
	v_mul_f32_e32 v0, v0, v17
	v_fma_f32 v0, v16, v1, -v0
	v_cvt_f64_f32_e32 v[0:1], v0
	v_cvt_f64_f32_e32 v[12:13], v12
	v_cvt_f32_f64_e32 v4, v[4:5]
	v_cvt_f32_f64_e32 v5, v[6:7]
	v_mul_f64 v[0:1], v[0:1], s[0:1]
	v_mul_f64 v[6:7], v[12:13], s[0:1]
	v_mov_b32_e32 v12, s4
	v_add_co_u32_e32 v8, vcc, s3, v8
	v_addc_co_u32_e32 v9, vcc, v9, v12, vcc
	global_store_dwordx2 v[8:9], v[4:5], off
	v_cvt_f32_f64_e32 v5, v[0:1]
	v_cvt_f32_f64_e32 v4, v[6:7]
	v_add_co_u32_e32 v8, vcc, s3, v8
	v_addc_co_u32_e32 v9, vcc, v9, v12, vcc
	s_waitcnt vmcnt(5)
	v_mul_f32_e32 v0, v3, v11
	v_fmac_f32_e32 v0, v2, v10
	v_cvt_f64_f32_e32 v[6:7], v0
	v_mul_f32_e32 v0, v2, v11
	v_fma_f32 v0, v10, v3, -v0
	v_cvt_f64_f32_e32 v[10:11], v0
	v_add_u32_e32 v0, 0x3000, v87
	ds_read2_b64 v[0:3], v0 offset0:48 offset1:192
	global_store_dwordx2 v[8:9], v[4:5], off
	v_mul_f64 v[4:5], v[6:7], s[0:1]
	v_mul_f64 v[6:7], v[10:11], s[0:1]
	v_add_co_u32_e32 v8, vcc, s3, v8
	s_waitcnt lgkmcnt(0)
	v_mul_f32_e32 v10, v1, v19
	v_fmac_f32_e32 v10, v0, v18
	v_mul_f32_e32 v0, v0, v19
	v_fma_f32 v0, v18, v1, -v0
	v_cvt_f64_f32_e32 v[10:11], v10
	v_cvt_f64_f32_e32 v[0:1], v0
	v_cvt_f32_f64_e32 v4, v[4:5]
	v_cvt_f32_f64_e32 v5, v[6:7]
	v_mul_f64 v[6:7], v[10:11], s[0:1]
	v_mul_f64 v[0:1], v[0:1], s[0:1]
	v_mov_b32_e32 v10, s4
	v_addc_co_u32_e32 v9, vcc, v9, v10, vcc
	global_store_dwordx2 v[8:9], v[4:5], off
	v_cvt_f32_f64_e32 v4, v[6:7]
	v_cvt_f32_f64_e32 v5, v[0:1]
	v_mov_b32_e32 v1, s4
	v_add_co_u32_e32 v0, vcc, s3, v8
	v_addc_co_u32_e32 v1, vcc, v9, v1, vcc
	global_store_dwordx2 v[0:1], v[4:5], off
	global_load_dwordx2 v[4:5], v[14:15], off offset:1536
	v_add_co_u32_e32 v0, vcc, s3, v0
	s_waitcnt vmcnt(0)
	v_mul_f32_e32 v6, v3, v5
	v_fmac_f32_e32 v6, v2, v4
	v_mul_f32_e32 v2, v2, v5
	v_fma_f32 v2, v4, v3, -v2
	v_cvt_f64_f32_e32 v[6:7], v6
	v_cvt_f64_f32_e32 v[2:3], v2
	v_mul_f64 v[4:5], v[6:7], s[0:1]
	v_mul_f64 v[2:3], v[2:3], s[0:1]
	v_cvt_f32_f64_e32 v4, v[4:5]
	v_cvt_f32_f64_e32 v5, v[2:3]
	v_mov_b32_e32 v2, s4
	v_addc_co_u32_e32 v1, vcc, v1, v2, vcc
	global_store_dwordx2 v[0:1], v[4:5], off
.LBB0_15:
	s_endpgm
	.section	.rodata,"a",@progbits
	.p2align	6, 0x0
	.amdhsa_kernel bluestein_single_fwd_len1872_dim1_sp_op_CI_CI
		.amdhsa_group_segment_fixed_size 14976
		.amdhsa_private_segment_fixed_size 0
		.amdhsa_kernarg_size 104
		.amdhsa_user_sgpr_count 6
		.amdhsa_user_sgpr_private_segment_buffer 1
		.amdhsa_user_sgpr_dispatch_ptr 0
		.amdhsa_user_sgpr_queue_ptr 0
		.amdhsa_user_sgpr_kernarg_segment_ptr 1
		.amdhsa_user_sgpr_dispatch_id 0
		.amdhsa_user_sgpr_flat_scratch_init 0
		.amdhsa_user_sgpr_private_segment_size 0
		.amdhsa_uses_dynamic_stack 0
		.amdhsa_system_sgpr_private_segment_wavefront_offset 0
		.amdhsa_system_sgpr_workgroup_id_x 1
		.amdhsa_system_sgpr_workgroup_id_y 0
		.amdhsa_system_sgpr_workgroup_id_z 0
		.amdhsa_system_sgpr_workgroup_info 0
		.amdhsa_system_vgpr_workitem_id 0
		.amdhsa_next_free_vgpr 176
		.amdhsa_next_free_sgpr 18
		.amdhsa_reserve_vcc 1
		.amdhsa_reserve_flat_scratch 0
		.amdhsa_float_round_mode_32 0
		.amdhsa_float_round_mode_16_64 0
		.amdhsa_float_denorm_mode_32 3
		.amdhsa_float_denorm_mode_16_64 3
		.amdhsa_dx10_clamp 1
		.amdhsa_ieee_mode 1
		.amdhsa_fp16_overflow 0
		.amdhsa_exception_fp_ieee_invalid_op 0
		.amdhsa_exception_fp_denorm_src 0
		.amdhsa_exception_fp_ieee_div_zero 0
		.amdhsa_exception_fp_ieee_overflow 0
		.amdhsa_exception_fp_ieee_underflow 0
		.amdhsa_exception_fp_ieee_inexact 0
		.amdhsa_exception_int_div_zero 0
	.end_amdhsa_kernel
	.text
.Lfunc_end0:
	.size	bluestein_single_fwd_len1872_dim1_sp_op_CI_CI, .Lfunc_end0-bluestein_single_fwd_len1872_dim1_sp_op_CI_CI
                                        ; -- End function
	.section	.AMDGPU.csdata,"",@progbits
; Kernel info:
; codeLenInByte = 14732
; NumSgprs: 22
; NumVgprs: 176
; ScratchSize: 0
; MemoryBound: 0
; FloatMode: 240
; IeeeMode: 1
; LDSByteSize: 14976 bytes/workgroup (compile time only)
; SGPRBlocks: 2
; VGPRBlocks: 43
; NumSGPRsForWavesPerEU: 22
; NumVGPRsForWavesPerEU: 176
; Occupancy: 1
; WaveLimiterHint : 1
; COMPUTE_PGM_RSRC2:SCRATCH_EN: 0
; COMPUTE_PGM_RSRC2:USER_SGPR: 6
; COMPUTE_PGM_RSRC2:TRAP_HANDLER: 0
; COMPUTE_PGM_RSRC2:TGID_X_EN: 1
; COMPUTE_PGM_RSRC2:TGID_Y_EN: 0
; COMPUTE_PGM_RSRC2:TGID_Z_EN: 0
; COMPUTE_PGM_RSRC2:TIDIG_COMP_CNT: 0
	.type	__hip_cuid_8c3158ff134bc5be,@object ; @__hip_cuid_8c3158ff134bc5be
	.section	.bss,"aw",@nobits
	.globl	__hip_cuid_8c3158ff134bc5be
__hip_cuid_8c3158ff134bc5be:
	.byte	0                               ; 0x0
	.size	__hip_cuid_8c3158ff134bc5be, 1

	.ident	"AMD clang version 19.0.0git (https://github.com/RadeonOpenCompute/llvm-project roc-6.4.0 25133 c7fe45cf4b819c5991fe208aaa96edf142730f1d)"
	.section	".note.GNU-stack","",@progbits
	.addrsig
	.addrsig_sym __hip_cuid_8c3158ff134bc5be
	.amdgpu_metadata
---
amdhsa.kernels:
  - .args:
      - .actual_access:  read_only
        .address_space:  global
        .offset:         0
        .size:           8
        .value_kind:     global_buffer
      - .actual_access:  read_only
        .address_space:  global
        .offset:         8
        .size:           8
        .value_kind:     global_buffer
      - .actual_access:  read_only
        .address_space:  global
        .offset:         16
        .size:           8
        .value_kind:     global_buffer
      - .actual_access:  read_only
        .address_space:  global
        .offset:         24
        .size:           8
        .value_kind:     global_buffer
      - .actual_access:  read_only
        .address_space:  global
        .offset:         32
        .size:           8
        .value_kind:     global_buffer
      - .offset:         40
        .size:           8
        .value_kind:     by_value
      - .address_space:  global
        .offset:         48
        .size:           8
        .value_kind:     global_buffer
      - .address_space:  global
        .offset:         56
        .size:           8
        .value_kind:     global_buffer
      - .address_space:  global
        .offset:         64
        .size:           8
        .value_kind:     global_buffer
      - .address_space:  global
        .offset:         72
        .size:           8
        .value_kind:     global_buffer
      - .offset:         80
        .size:           4
        .value_kind:     by_value
      - .address_space:  global
        .offset:         88
        .size:           8
        .value_kind:     global_buffer
      - .address_space:  global
        .offset:         96
        .size:           8
        .value_kind:     global_buffer
    .group_segment_fixed_size: 14976
    .kernarg_segment_align: 8
    .kernarg_segment_size: 104
    .language:       OpenCL C
    .language_version:
      - 2
      - 0
    .max_flat_workgroup_size: 156
    .name:           bluestein_single_fwd_len1872_dim1_sp_op_CI_CI
    .private_segment_fixed_size: 0
    .sgpr_count:     22
    .sgpr_spill_count: 0
    .symbol:         bluestein_single_fwd_len1872_dim1_sp_op_CI_CI.kd
    .uniform_work_group_size: 1
    .uses_dynamic_stack: false
    .vgpr_count:     176
    .vgpr_spill_count: 0
    .wavefront_size: 64
amdhsa.target:   amdgcn-amd-amdhsa--gfx906
amdhsa.version:
  - 1
  - 2
...

	.end_amdgpu_metadata
